;; amdgpu-corpus repo=ROCm/rocFFT kind=compiled arch=gfx950 opt=O3
	.text
	.amdgcn_target "amdgcn-amd-amdhsa--gfx950"
	.amdhsa_code_object_version 6
	.protected	bluestein_single_fwd_len936_dim1_dp_op_CI_CI ; -- Begin function bluestein_single_fwd_len936_dim1_dp_op_CI_CI
	.globl	bluestein_single_fwd_len936_dim1_dp_op_CI_CI
	.p2align	8
	.type	bluestein_single_fwd_len936_dim1_dp_op_CI_CI,@function
bluestein_single_fwd_len936_dim1_dp_op_CI_CI: ; @bluestein_single_fwd_len936_dim1_dp_op_CI_CI
; %bb.0:
	s_load_dwordx4 s[16:19], s[0:1], 0x28
	v_mul_u32_u24_e32 v1, 0x349, v0
	v_lshrrev_b32_e32 v2, 16, v1
	v_mad_u64_u32 v[238:239], s[2:3], s2, 3, v[2:3]
	v_mov_b32_e32 v237, 0
	v_mov_b32_e32 v239, v237
	s_waitcnt lgkmcnt(0)
	v_cmp_gt_u64_e32 vcc, s[16:17], v[238:239]
	s_and_saveexec_b64 s[2:3], vcc
	s_cbranch_execz .LBB0_10
; %bb.1:
	s_load_dwordx4 s[4:7], s[0:1], 0x18
	s_load_dwordx4 s[8:11], s[0:1], 0x0
	v_mul_lo_u16_e32 v1, 0x4e, v2
	v_sub_u16_e32 v236, v0, v1
	v_mov_b32_e32 v4, s18
	s_waitcnt lgkmcnt(0)
	s_load_dwordx4 s[12:15], s[4:5], 0x0
	v_mov_b32_e32 v5, s19
	v_mov_b32_e32 v14, 0xffffe7a0
                                        ; implicit-def: $vgpr148_vgpr149
	s_waitcnt lgkmcnt(0)
	v_mad_u64_u32 v[0:1], s[2:3], s14, v238, 0
	v_mov_b32_e32 v2, v1
	v_mad_u64_u32 v[2:3], s[2:3], s15, v238, v[2:3]
	v_mov_b32_e32 v1, v2
	v_mad_u64_u32 v[2:3], s[2:3], s12, v236, 0
	v_mov_b32_e32 v6, v3
	v_mad_u64_u32 v[6:7], s[2:3], s13, v236, v[6:7]
	v_mov_b32_e32 v3, v6
	v_lshl_add_u64 v[0:1], v[0:1], 4, v[4:5]
	v_lshl_add_u64 v[4:5], v[2:3], 4, v[0:1]
	v_lshlrev_b32_e32 v0, 4, v236
	v_mov_b32_e32 v1, v237
	v_lshl_add_u64 v[2:3], s[8:9], 0, v[0:1]
	v_mov_b32_e32 v1, 0x1d40
	v_mad_u64_u32 v[6:7], s[2:3], s12, v1, v[4:5]
	s_mul_i32 s2, s13, 0x1d40
	s_nop 0
	v_add_u32_e32 v7, s2, v7
	s_movk_i32 s3, 0x1000
	global_load_dwordx4 v[48:51], v[4:5], off
	global_load_dwordx4 v[56:59], v[6:7], off
	v_add_co_u32_e32 v4, vcc, s3, v2
	s_mul_i32 s3, s13, 0xffffe7a0
	v_mad_u64_u32 v[8:9], s[4:5], s12, v14, v[6:7]
	s_sub_i32 s3, s3, s12
	v_add_u32_e32 v9, s3, v9
	v_mad_u64_u32 v[6:7], s[4:5], s12, v1, v[8:9]
	global_load_dwordx4 v[20:23], v0, s[8:9]
	v_addc_co_u32_e32 v5, vcc, 0, v3, vcc
	v_add_u32_e32 v7, s2, v7
	s_movk_i32 s4, 0x2000
	global_load_dwordx4 v[16:19], v[4:5], off offset:3392
	v_add_co_u32_e32 v10, vcc, s4, v2
	v_mad_u64_u32 v[12:13], s[4:5], s12, v14, v[6:7]
	s_nop 0
	v_addc_co_u32_e32 v11, vcc, 0, v3, vcc
	v_add_u32_e32 v13, s3, v13
	global_load_dwordx4 v[52:55], v[8:9], off
	global_load_dwordx4 v[92:95], v0, s[8:9] offset:1248
	global_load_dwordx4 v[108:111], v[10:11], off offset:544
	global_load_dwordx4 v[60:63], v[6:7], off
	s_nop 0
	global_load_dwordx4 v[6:9], v[12:13], off
	global_load_dwordx4 v[36:39], v0, s[8:9] offset:2496
	v_mad_u64_u32 v[12:13], s[4:5], s12, v1, v[12:13]
	v_add_u32_e32 v13, s2, v13
	global_load_dwordx4 v[64:67], v[12:13], off
	global_load_dwordx4 v[32:35], v[10:11], off offset:1792
	v_mad_u64_u32 v[12:13], s[4:5], s12, v14, v[12:13]
	v_add_u32_e32 v13, s3, v13
	global_load_dwordx4 v[68:71], v[12:13], off
	global_load_dwordx4 v[44:47], v0, s[8:9] offset:3744
	v_mad_u64_u32 v[12:13], s[4:5], s12, v1, v[12:13]
	v_add_u32_e32 v13, s2, v13
	global_load_dwordx4 v[72:75], v[12:13], off
	global_load_dwordx4 v[100:103], v[10:11], off offset:3040
	v_mad_u64_u32 v[10:11], s[4:5], s12, v14, v[12:13]
	v_add_u32_e32 v11, s3, v11
	global_load_dwordx4 v[76:79], v[10:11], off
	global_load_dwordx4 v[24:27], v[4:5], off offset:896
	v_mad_u64_u32 v[10:11], s[4:5], s12, v1, v[10:11]
	s_movk_i32 s4, 0x3000
	v_add_u32_e32 v11, s2, v11
	v_add_co_u32_e32 v12, vcc, s4, v2
	global_load_dwordx4 v[80:83], v[10:11], off
	s_nop 0
	v_addc_co_u32_e32 v13, vcc, 0, v3, vcc
	v_mad_u64_u32 v[2:3], s[4:5], s12, v14, v[10:11]
	v_add_u32_e32 v3, s3, v3
	global_load_dwordx4 v[28:31], v[12:13], off offset:192
	v_mad_u64_u32 v[10:11], s[4:5], s12, v1, v[2:3]
	global_load_dwordx4 v[84:87], v[2:3], off
	global_load_dwordx4 v[40:43], v[4:5], off offset:2144
	v_add_u32_e32 v11, s2, v11
	global_load_dwordx4 v[2:5], v[10:11], off
	global_load_dwordx4 v[104:107], v[12:13], off offset:1440
	s_mov_b32 s2, 0xaaaaaaab
	v_mul_hi_u32 v1, v238, s2
	v_lshrrev_b32_e32 v1, 1, v1
	v_lshl_add_u32 v1, v1, 1, v1
	v_sub_u32_e32 v1, v238, v1
	v_mul_u32_u24_e32 v1, 0x3a8, v1
	v_lshlrev_b32_e32 v98, 4, v1
	v_add_u32_e32 v239, v0, v98
	s_load_dwordx4 s[4:7], s[6:7], 0x0
	s_mov_b64 s[2:3], 0x4e
	v_lshl_add_u64 v[184:185], v[236:237], 0, s[2:3]
	s_mov_b64 s[2:3], 0x9c
	v_lshl_add_u64 v[218:219], v[236:237], 0, s[2:3]
	;; [unrolled: 2-line block ×5, first 2 shown]
	v_and_b32_e32 v12, 1, v236
	v_lshl_add_u32 v217, v156, 5, v98
	s_load_dwordx2 s[2:3], s[0:1], 0x38
	v_lshlrev_b32_e32 v13, 1, v236
	s_movk_i32 s0, 0xfc
	v_lshlrev_b32_e32 v219, 1, v184
	s_waitcnt vmcnt(21)
	v_mul_f64 v[88:89], v[50:51], v[22:23]
	v_mul_f64 v[0:1], v[48:49], v[22:23]
	v_fmac_f64_e32 v[88:89], v[48:49], v[20:21]
	v_fma_f64 v[90:91], v[50:51], v[20:21], -v[0:1]
	ds_write_b128 v239, v[88:91]
	s_waitcnt vmcnt(20)
	v_mul_f64 v[48:49], v[58:59], v[18:19]
	v_mul_f64 v[0:1], v[56:57], v[18:19]
	v_fmac_f64_e32 v[48:49], v[56:57], v[16:17]
	v_fma_f64 v[50:51], v[58:59], v[16:17], -v[0:1]
	ds_write_b128 v239, v[48:51] offset:7488
	v_accvgpr_write_b32 a0, v16
	v_accvgpr_write_b32 a1, v17
	;; [unrolled: 1-line block ×3, first 2 shown]
	s_waitcnt vmcnt(18)
	v_mul_f64 v[48:49], v[54:55], v[94:95]
	v_mul_f64 v[0:1], v[52:53], v[94:95]
	v_fmac_f64_e32 v[48:49], v[52:53], v[92:93]
	v_fma_f64 v[50:51], v[54:55], v[92:93], -v[0:1]
	ds_write_b128 v239, v[48:51] offset:1248
	s_waitcnt vmcnt(16)
	v_mul_f64 v[48:49], v[62:63], v[110:111]
	v_mul_f64 v[0:1], v[60:61], v[110:111]
	v_fmac_f64_e32 v[48:49], v[60:61], v[108:109]
	v_fma_f64 v[50:51], v[62:63], v[108:109], -v[0:1]
	ds_write_b128 v239, v[48:51] offset:8736
	s_waitcnt vmcnt(14)
	v_mul_f64 v[48:49], v[8:9], v[38:39]
	v_mul_f64 v[0:1], v[6:7], v[38:39]
	v_fmac_f64_e32 v[48:49], v[6:7], v[36:37]
	v_fma_f64 v[50:51], v[8:9], v[36:37], -v[0:1]
	s_waitcnt vmcnt(12)
	v_mul_f64 v[6:7], v[66:67], v[34:35]
	v_mul_f64 v[0:1], v[64:65], v[34:35]
	v_fmac_f64_e32 v[6:7], v[64:65], v[32:33]
	v_fma_f64 v[8:9], v[66:67], v[32:33], -v[0:1]
	ds_write_b128 v239, v[6:9] offset:9984
	s_waitcnt vmcnt(10)
	v_mul_f64 v[6:7], v[70:71], v[46:47]
	v_mul_f64 v[0:1], v[68:69], v[46:47]
	v_fmac_f64_e32 v[6:7], v[68:69], v[44:45]
	v_fma_f64 v[8:9], v[70:71], v[44:45], -v[0:1]
	ds_write_b128 v239, v[6:9] offset:3744
	;; [unrolled: 6-line block ×4, first 2 shown]
	s_waitcnt vmcnt(4)
	v_mul_f64 v[6:7], v[82:83], v[30:31]
	v_mul_f64 v[0:1], v[80:81], v[30:31]
	v_fmac_f64_e32 v[6:7], v[80:81], v[28:29]
	v_fma_f64 v[8:9], v[82:83], v[28:29], -v[0:1]
	s_waitcnt vmcnt(2)
	v_mul_f64 v[0:1], v[84:85], v[42:43]
	ds_write_b128 v239, v[6:9] offset:12480
	v_fma_f64 v[8:9], v[86:87], v[40:41], -v[0:1]
	s_waitcnt vmcnt(0)
	v_mul_f64 v[0:1], v[4:5], v[106:107]
	v_mul_f64 v[6:7], v[86:87], v[42:43]
	v_fmac_f64_e32 v[0:1], v[2:3], v[104:105]
	v_mul_f64 v[2:3], v[2:3], v[106:107]
	v_fmac_f64_e32 v[6:7], v[84:85], v[40:41]
	v_fma_f64 v[2:3], v[4:5], v[104:105], -v[2:3]
	ds_write_b128 v239, v[48:51] offset:2496
	ds_write_b128 v239, v[6:9] offset:6240
	;; [unrolled: 1-line block ×3, first 2 shown]
	s_waitcnt lgkmcnt(0)
	s_barrier
	ds_read_b128 v[0:3], v239
	ds_read_b128 v[4:7], v239 offset:1248
	ds_read_b128 v[8:11], v239 offset:7488
	;; [unrolled: 1-line block ×11, first 2 shown]
	v_accvgpr_write_b32 a28, v44
	s_waitcnt lgkmcnt(9)
	v_add_f64 v[8:9], v[0:1], -v[8:9]
	v_add_f64 v[10:11], v[2:3], -v[10:11]
	v_accvgpr_write_b32 a29, v45
	v_accvgpr_write_b32 a30, v46
	;; [unrolled: 1-line block ×3, first 2 shown]
	v_fma_f64 v[0:1], v[0:1], 2.0, -v[8:9]
	v_fma_f64 v[2:3], v[2:3], 2.0, -v[10:11]
	s_waitcnt lgkmcnt(8)
	v_add_f64 v[48:49], v[4:5], -v[48:49]
	v_add_f64 v[50:51], v[6:7], -v[50:51]
	v_lshl_add_u32 v47, v236, 5, v98
	v_fma_f64 v[4:5], v[4:5], 2.0, -v[48:49]
	v_fma_f64 v[6:7], v[6:7], 2.0, -v[50:51]
	s_waitcnt lgkmcnt(5)
	v_add_f64 v[60:61], v[52:53], -v[60:61]
	v_add_f64 v[62:63], v[54:55], -v[62:63]
	s_waitcnt lgkmcnt(0)
	s_barrier
	ds_write_b128 v47, v[0:3]
	ds_write_b128 v47, v[8:11] offset:16
	v_lshl_add_u32 v0, v184, 5, v98
	v_fma_f64 v[52:53], v[52:53], 2.0, -v[60:61]
	v_fma_f64 v[54:55], v[54:55], 2.0, -v[62:63]
	v_add_f64 v[64:65], v[56:57], -v[64:65]
	v_add_f64 v[66:67], v[58:59], -v[66:67]
	ds_write_b128 v0, v[4:7]
	v_accvgpr_write_b32 a56, v0
	ds_write_b128 v0, v[48:51] offset:16
	v_lshl_add_u32 v0, v218, 5, v98
	v_fma_f64 v[56:57], v[56:57], 2.0, -v[64:65]
	v_fma_f64 v[58:59], v[58:59], 2.0, -v[66:67]
	v_add_f64 v[76:77], v[68:69], -v[76:77]
	v_add_f64 v[78:79], v[70:71], -v[78:79]
	ds_write_b128 v0, v[52:55]
	v_accvgpr_write_b32 a57, v0
	;; [unrolled: 8-line block ×3, first 2 shown]
	ds_write_b128 v0, v[64:67] offset:16
	v_lshl_add_u32 v0, v158, 5, v98
	v_fma_f64 v[72:73], v[72:73], 2.0, -v[80:81]
	v_fma_f64 v[74:75], v[74:75], 2.0, -v[82:83]
	ds_write_b128 v0, v[68:71]
	v_accvgpr_write_b32 a59, v0
	ds_write_b128 v0, v[76:79] offset:16
	v_lshlrev_b32_e32 v0, 4, v12
	ds_write_b128 v217, v[72:75]
	ds_write_b128 v217, v[80:83] offset:16
	s_waitcnt lgkmcnt(0)
	s_barrier
	global_load_dwordx4 v[56:59], v0, s[10:11]
	ds_read_b128 v[0:3], v239
	ds_read_b128 v[4:7], v239 offset:1248
	ds_read_b128 v[8:11], v239 offset:7488
	;; [unrolled: 1-line block ×11, first 2 shown]
	v_accvgpr_write_b32 a40, v104
	v_accvgpr_write_b32 a36, v100
	;; [unrolled: 1-line block ×15, first 2 shown]
	s_waitcnt lgkmcnt(0)
	s_barrier
	v_accvgpr_write_b32 a45, v109
	v_accvgpr_write_b32 a46, v110
	;; [unrolled: 1-line block ×6, first 2 shown]
	v_lshlrev_b32_e32 v26, 1, v218
	v_lshlrev_b32_e32 v27, 1, v216
	v_accvgpr_write_b32 a12, v28
	v_accvgpr_write_b32 a13, v29
	;; [unrolled: 1-line block ×4, first 2 shown]
	v_lshlrev_b32_e32 v28, 1, v158
	v_lshlrev_b32_e32 v29, 1, v156
	v_accvgpr_write_b32 a32, v92
	v_accvgpr_write_b32 a20, v36
	v_accvgpr_write_b32 a16, v32
	v_accvgpr_write_b32 a24, v40
	v_accvgpr_write_b32 a33, v93
	v_accvgpr_write_b32 a34, v94
	v_accvgpr_write_b32 a35, v95
	v_accvgpr_write_b32 a21, v37
	v_accvgpr_write_b32 a22, v38
	v_accvgpr_write_b32 a23, v39
	v_accvgpr_write_b32 a17, v33
	v_accvgpr_write_b32 a18, v34
	v_accvgpr_write_b32 a19, v35
	v_accvgpr_write_b32 a25, v41
	v_accvgpr_write_b32 a26, v42
	v_accvgpr_write_b32 a27, v43
	s_waitcnt vmcnt(0)
	v_mul_f64 v[14:15], v[10:11], v[58:59]
	v_fma_f64 v[14:15], v[8:9], v[56:57], -v[14:15]
	v_mul_f64 v[8:9], v[8:9], v[58:59]
	v_fmac_f64_e32 v[8:9], v[10:11], v[56:57]
	v_add_f64 v[104:105], v[0:1], -v[14:15]
	v_mul_f64 v[10:11], v[50:51], v[58:59]
	v_mul_f64 v[16:17], v[48:49], v[58:59]
	v_add_f64 v[106:107], v[2:3], -v[8:9]
	v_fma_f64 v[100:101], v[0:1], 2.0, -v[104:105]
	v_and_or_b32 v0, v13, s0, v12
	v_fma_f64 v[10:11], v[48:49], v[56:57], -v[10:11]
	v_fmac_f64_e32 v[16:17], v[50:51], v[56:57]
	v_fma_f64 v[102:103], v[2:3], 2.0, -v[106:107]
	v_lshl_add_u32 v0, v0, 4, v98
	s_movk_i32 s0, 0x1fc
	v_mul_f64 v[18:19], v[66:67], v[58:59]
	v_mul_f64 v[20:21], v[64:65], v[58:59]
	v_add_f64 v[112:113], v[4:5], -v[10:11]
	v_add_f64 v[114:115], v[6:7], -v[16:17]
	ds_write_b128 v0, v[100:103]
	v_accvgpr_write_b32 a60, v0
	ds_write_b128 v0, v[104:107] offset:32
	v_and_or_b32 v0, v219, s0, v12
	v_fma_f64 v[18:19], v[64:65], v[56:57], -v[18:19]
	v_fmac_f64_e32 v[20:21], v[66:67], v[56:57]
	v_fma_f64 v[108:109], v[4:5], 2.0, -v[112:113]
	v_fma_f64 v[110:111], v[6:7], 2.0, -v[114:115]
	v_lshl_add_u32 v0, v0, 4, v98
	s_movk_i32 s0, 0x3fc
	v_mul_f64 v[22:23], v[70:71], v[58:59]
	v_mul_f64 v[24:25], v[68:69], v[58:59]
	v_add_f64 v[120:121], v[52:53], -v[18:19]
	v_add_f64 v[122:123], v[54:55], -v[20:21]
	ds_write_b128 v0, v[108:111]
	v_accvgpr_write_b32 a61, v0
	ds_write_b128 v0, v[112:115] offset:32
	v_and_or_b32 v0, v26, s0, v12
	v_fma_f64 v[22:23], v[68:69], v[56:57], -v[22:23]
	v_fmac_f64_e32 v[24:25], v[70:71], v[56:57]
	v_fma_f64 v[116:117], v[52:53], 2.0, -v[120:121]
	v_fma_f64 v[118:119], v[54:55], 2.0, -v[122:123]
	v_lshl_add_u32 v0, v0, 4, v98
	v_mul_f64 v[48:49], v[82:83], v[58:59]
	v_mul_f64 v[50:51], v[80:81], v[58:59]
	v_add_f64 v[128:129], v[60:61], -v[22:23]
	v_add_f64 v[130:131], v[62:63], -v[24:25]
	ds_write_b128 v0, v[116:119]
	v_accvgpr_write_b32 a62, v0
	ds_write_b128 v0, v[120:123] offset:32
	v_and_or_b32 v0, v27, s0, v12
	v_fma_f64 v[48:49], v[80:81], v[56:57], -v[48:49]
	v_fmac_f64_e32 v[50:51], v[82:83], v[56:57]
	v_fma_f64 v[124:125], v[60:61], 2.0, -v[128:129]
	v_fma_f64 v[126:127], v[62:63], 2.0, -v[130:131]
	v_lshl_add_u32 v0, v0, 4, v98
	v_add_f64 v[136:137], v[72:73], -v[48:49]
	v_add_f64 v[138:139], v[74:75], -v[50:51]
	ds_write_b128 v0, v[124:127]
	v_accvgpr_write_b32 a63, v0
	ds_write_b128 v0, v[128:131] offset:32
	v_and_or_b32 v0, v28, s0, v12
	v_mul_f64 v[64:65], v[86:87], v[58:59]
	v_mul_f64 v[66:67], v[84:85], v[58:59]
	v_fma_f64 v[132:133], v[72:73], 2.0, -v[136:137]
	v_fma_f64 v[134:135], v[74:75], 2.0, -v[138:139]
	v_lshl_add_u32 v0, v0, 4, v98
	s_movk_i32 s0, 0x7fc
	v_fma_f64 v[64:65], v[84:85], v[56:57], -v[64:65]
	v_fmac_f64_e32 v[66:67], v[86:87], v[56:57]
	ds_write_b128 v0, v[132:135]
	v_accvgpr_write_b32 a64, v0
	ds_write_b128 v0, v[136:139] offset:32
	v_and_or_b32 v0, v29, s0, v12
	v_add_f64 v[144:145], v[76:77], -v[64:65]
	v_add_f64 v[146:147], v[78:79], -v[66:67]
	v_lshl_add_u32 v0, v0, 4, v98
	s_movk_i32 s0, 0x48
	v_fma_f64 v[140:141], v[76:77], 2.0, -v[144:145]
	v_fma_f64 v[142:143], v[78:79], 2.0, -v[146:147]
	v_accvgpr_write_b32 a65, v0
	v_cmp_gt_u16_e32 vcc, s0, v236
	ds_write_b128 v0, v[140:143]
	ds_write_b128 v0, v[144:147] offset:32
	s_waitcnt lgkmcnt(0)
	s_barrier
	s_and_saveexec_b64 s[0:1], vcc
	s_cbranch_execz .LBB0_3
; %bb.2:
	ds_read_b128 v[100:103], v239
	ds_read_b128 v[104:107], v239 offset:1152
	ds_read_b128 v[108:111], v239 offset:2304
	;; [unrolled: 1-line block ×12, first 2 shown]
.LBB0_3:
	s_or_b64 exec, exec, s[0:1]
	v_and_b32_e32 v96, 3, v236
	v_mul_u32_u24_e32 v0, 12, v96
	v_lshlrev_b32_e32 v0, 4, v0
	global_load_dwordx4 v[48:51], v0, s[10:11] offset:32
	global_load_dwordx4 v[26:29], v0, s[10:11] offset:48
	global_load_dwordx4 v[60:63], v0, s[10:11] offset:64
	global_load_dwordx4 v[64:67], v0, s[10:11] offset:80
	global_load_dwordx4 v[76:79], v0, s[10:11] offset:96
	global_load_dwordx4 v[52:55], v0, s[10:11] offset:112
	global_load_dwordx4 v[88:91], v0, s[10:11] offset:128
	global_load_dwordx4 v[80:83], v0, s[10:11] offset:144
	global_load_dwordx4 v[92:95], v0, s[10:11] offset:160
	global_load_dwordx4 v[84:87], v0, s[10:11] offset:176
	global_load_dwordx4 v[72:75], v0, s[10:11] offset:192
	global_load_dwordx4 v[68:71], v0, s[10:11] offset:208
	s_mov_b32 s18, 0x4267c47c
	s_mov_b32 s0, 0xe00740e9
	;; [unrolled: 1-line block ×24, first 2 shown]
	v_lshrrev_b32_e32 v97, 2, v236
	v_mov_b32_e32 v223, 0
	s_waitcnt lgkmcnt(0)
	s_barrier
	s_waitcnt vmcnt(11)
	v_mul_f64 v[152:153], v[104:105], v[50:51]
	v_mul_f64 v[0:1], v[106:107], v[50:51]
	s_waitcnt vmcnt(10)
	v_mul_f64 v[154:155], v[108:109], v[28:29]
	v_fmac_f64_e32 v[152:153], v[106:107], v[48:49]
	v_mul_f64 v[2:3], v[110:111], v[28:29]
	s_waitcnt vmcnt(9)
	v_mul_f64 v[160:161], v[112:113], v[62:63]
	s_waitcnt vmcnt(5)
	;; [unrolled: 2-line block ×4, first 2 shown]
	v_mul_f64 v[172:173], v[136:137], v[94:95]
	v_mul_f64 v[170:171], v[132:133], v[82:83]
	s_waitcnt vmcnt(1)
	v_mul_f64 v[180:181], v[144:145], v[74:75]
	s_waitcnt vmcnt(0)
	v_mul_f64 v[186:187], v[148:149], v[70:71]
	v_mul_f64 v[24:25], v[150:151], v[70:71]
	v_fmac_f64_e32 v[186:187], v[150:151], v[68:69]
	v_mul_f64 v[18:19], v[138:139], v[94:95]
	v_mul_f64 v[20:21], v[142:143], v[86:87]
	;; [unrolled: 1-line block ×4, first 2 shown]
	v_fma_f64 v[174:175], v[104:105], v[48:49], -v[0:1]
	v_fmac_f64_e32 v[154:155], v[110:111], v[26:27]
	v_fmac_f64_e32 v[172:173], v[138:139], v[92:93]
	;; [unrolled: 1-line block ×3, first 2 shown]
	v_fma_f64 v[138:139], v[148:149], v[68:69], -v[24:25]
	v_add_f64 v[204:205], v[152:153], -v[186:187]
	v_mul_f64 v[4:5], v[114:115], v[62:63]
	v_mul_f64 v[14:15], v[130:131], v[90:91]
	v_fma_f64 v[178:179], v[108:109], v[26:27], -v[2:3]
	v_fmac_f64_e32 v[160:161], v[114:115], v[60:61]
	v_fmac_f64_e32 v[168:169], v[130:131], v[88:89]
	v_fma_f64 v[130:131], v[132:133], v[80:81], -v[16:17]
	v_fmac_f64_e32 v[170:171], v[134:135], v[80:81]
	v_fma_f64 v[132:133], v[136:137], v[92:93], -v[18:19]
	v_fma_f64 v[134:135], v[140:141], v[84:85], -v[20:21]
	v_fmac_f64_e32 v[176:177], v[142:143], v[84:85]
	v_fma_f64 v[136:137], v[144:145], v[72:73], -v[22:23]
	v_add_f64 v[146:147], v[174:175], v[138:139]
	v_add_f64 v[194:195], v[174:175], -v[138:139]
	v_add_f64 v[208:209], v[154:155], -v[180:181]
	v_mul_f64 v[140:141], v[204:205], s[18:19]
	v_mul_f64 v[162:163], v[116:117], v[66:67]
	v_fma_f64 v[182:183], v[112:113], v[60:61], -v[4:5]
	v_add_f64 v[220:221], v[152:153], v[186:187]
	v_add_f64 v[148:149], v[178:179], v[136:137]
	v_add_f64 v[198:199], v[178:179], -v[136:137]
	v_mul_f64 v[144:145], v[194:195], s[18:19]
	v_mul_f64 v[142:143], v[208:209], s[14:15]
	v_fma_f64 v[0:1], s[0:1], v[146:147], v[140:141]
	v_add_f64 v[228:229], v[160:161], -v[176:177]
	v_mul_f64 v[6:7], v[118:119], v[66:67]
	v_fmac_f64_e32 v[162:163], v[118:119], v[64:65]
	v_add_f64 v[226:227], v[154:155], v[180:181]
	v_mul_f64 v[150:151], v[198:199], s[14:15]
	v_fma_f64 v[2:3], v[220:221], s[0:1], -v[144:145]
	v_fma_f64 v[4:5], s[12:13], v[148:149], v[142:143]
	v_add_f64 v[0:1], v[100:101], v[0:1]
	v_add_f64 v[200:201], v[182:183], v[134:135]
	v_add_f64 v[210:211], v[182:183], -v[134:135]
	v_mul_f64 v[196:197], v[228:229], s[28:29]
	v_mul_f64 v[164:165], v[120:121], v[78:79]
	v_fma_f64 v[188:189], v[116:117], v[64:65], -v[6:7]
	v_fma_f64 v[6:7], v[226:227], s[12:13], -v[150:151]
	v_add_f64 v[2:3], v[102:103], v[2:3]
	v_add_f64 v[0:1], v[4:5], v[0:1]
	;; [unrolled: 1-line block ×3, first 2 shown]
	v_mul_f64 v[202:203], v[210:211], s[28:29]
	v_fma_f64 v[4:5], s[20:21], v[200:201], v[196:197]
	v_add_f64 v[244:245], v[162:163], -v[172:173]
	v_mul_f64 v[8:9], v[122:123], v[78:79]
	v_fmac_f64_e32 v[164:165], v[122:123], v[76:77]
	v_add_f64 v[2:3], v[6:7], v[2:3]
	v_add_f64 v[0:1], v[4:5], v[0:1]
	v_fma_f64 v[4:5], v[242:243], s[20:21], -v[202:203]
	v_add_f64 v[212:213], v[188:189], v[132:133]
	v_add_f64 v[230:231], v[188:189], -v[132:133]
	v_mul_f64 v[206:207], v[244:245], s[24:25]
	v_fma_f64 v[190:191], v[120:121], v[76:77], -v[8:9]
	v_add_f64 v[2:3], v[4:5], v[2:3]
	v_add_f64 v[254:255], v[162:163], v[172:173]
	v_mul_f64 v[214:215], v[230:231], s[24:25]
	v_fma_f64 v[4:5], s[22:23], v[212:213], v[206:207]
	v_add_f64 v[246:247], v[164:165], -v[170:171]
	v_mul_f64 v[166:167], v[124:125], v[54:55]
	v_add_f64 v[0:1], v[4:5], v[0:1]
	v_fma_f64 v[4:5], v[254:255], s[22:23], -v[214:215]
	v_add_f64 v[232:233], v[190:191], v[130:131]
	v_mul_f64 v[224:225], v[246:247], s[36:37]
	v_mul_f64 v[10:11], v[126:127], v[54:55]
	v_fmac_f64_e32 v[166:167], v[126:127], v[52:53]
	v_add_f64 v[2:3], v[4:5], v[2:3]
	v_fma_f64 v[4:5], s[26:27], v[232:233], v[224:225]
	v_add_f64 v[248:249], v[190:191], -v[130:131]
	v_fma_f64 v[192:193], v[124:125], v[52:53], -v[10:11]
	v_fma_f64 v[128:129], v[128:129], v[88:89], -v[14:15]
	v_add_f64 v[4:5], v[4:5], v[0:1]
	v_add_f64 v[0:1], v[164:165], v[170:171]
	v_mul_f64 v[234:235], v[248:249], s[36:37]
	v_add_f64 v[10:11], v[166:167], -v[168:169]
	v_fma_f64 v[6:7], v[0:1], s[26:27], -v[234:235]
	v_add_f64 v[250:251], v[192:193], v[128:129]
	v_mul_f64 v[240:241], v[10:11], s[34:35]
	v_add_f64 v[6:7], v[6:7], v[2:3]
	v_fma_f64 v[2:3], s[30:31], v[250:251], v[240:241]
	v_add_f64 v[8:9], v[192:193], -v[128:129]
	v_add_f64 v[120:121], v[2:3], v[4:5]
	v_add_f64 v[2:3], v[166:167], v[168:169]
	v_mul_f64 v[252:253], v[8:9], s[34:35]
	v_accvgpr_write_b32 a55, v29
	v_fma_f64 v[4:5], v[2:3], s[30:31], -v[252:253]
	v_accvgpr_write_b32 a54, v28
	v_accvgpr_write_b32 a53, v27
	;; [unrolled: 1-line block ×3, first 2 shown]
	v_add_f64 v[122:123], v[4:5], v[6:7]
	s_and_saveexec_b64 s[16:17], vcc
	s_cbranch_execz .LBB0_5
; %bb.4:
	v_mul_f64 v[112:113], v[220:221], s[30:31]
	s_mov_b32 s47, 0x3fcea1e5
	s_mov_b32 s46, s34
	v_mul_f64 v[110:111], v[226:227], s[0:1]
	v_fma_f64 v[114:115], s[46:47], v[194:195], v[112:113]
	v_mul_f64 v[108:109], v[242:243], s[26:27]
	s_mov_b32 s39, 0x3fe5384d
	s_mov_b32 s38, s36
	v_fma_f64 v[106:107], s[18:19], v[198:199], v[110:111]
	v_add_f64 v[114:115], v[102:103], v[114:115]
	s_mov_b32 s45, 0x3fddbe06
	s_mov_b32 s44, s18
	v_mul_f64 v[28:29], v[204:205], s[34:35]
	v_mul_f64 v[22:23], v[254:255], s[12:13]
	v_fma_f64 v[104:105], s[38:39], v[210:211], v[108:109]
	v_add_f64 v[106:107], v[106:107], v[114:115]
	v_mul_f64 v[126:127], v[208:209], s[44:45]
	v_fma_f64 v[30:31], s[30:31], v[146:147], v[28:29]
	v_mul_f64 v[18:19], v[0:1], s[22:23]
	s_mov_b32 s43, 0x3fedeba7
	s_mov_b32 s42, s24
	v_fma_f64 v[24:25], s[14:15], v[230:231], v[22:23]
	v_add_f64 v[104:105], v[104:105], v[106:107]
	s_mov_b32 s49, 0x3fea55e2
	s_mov_b32 s48, s14
	v_mul_f64 v[118:119], v[228:229], s[36:37]
	v_fma_f64 v[26:27], s[0:1], v[148:149], v[126:127]
	v_add_f64 v[30:31], v[100:101], v[30:31]
	v_mul_f64 v[14:15], v[2:3], s[20:21]
	v_fma_f64 v[20:21], s[42:43], v[248:249], v[18:19]
	v_add_f64 v[24:25], v[24:25], v[104:105]
	;; [unrolled: 3-line block ×3, first 2 shown]
	v_fma_f64 v[16:17], s[28:29], v[8:9], v[14:15]
	v_add_f64 v[20:21], v[20:21], v[24:25]
	s_mov_b32 s41, 0x3fefc445
	s_mov_b32 s40, s28
	v_mul_f64 v[24:25], v[246:247], s[24:25]
	v_fma_f64 v[116:117], s[12:13], v[212:213], v[114:115]
	v_add_f64 v[26:27], v[124:125], v[26:27]
	v_add_f64 v[106:107], v[16:17], v[20:21]
	v_mul_f64 v[16:17], v[10:11], s[40:41]
	v_fma_f64 v[104:105], s[22:23], v[232:233], v[24:25]
	v_add_f64 v[26:27], v[116:117], v[26:27]
	v_fma_f64 v[20:21], s[20:21], v[250:251], v[16:17]
	v_add_f64 v[26:27], v[104:105], v[26:27]
	v_fmac_f64_e32 v[112:113], s[34:35], v[194:195]
	v_add_f64 v[104:105], v[20:21], v[26:27]
	v_fmac_f64_e32 v[110:111], s[44:45], v[198:199]
	;; [unrolled: 2-line block ×6, first 2 shown]
	v_add_f64 v[18:19], v[18:19], v[20:21]
	v_add_f64 v[110:111], v[14:15], v[18:19]
	v_fma_f64 v[14:15], v[250:251], s[20:21], -v[16:17]
	v_fma_f64 v[16:17], v[232:233], s[22:23], -v[24:25]
	;; [unrolled: 1-line block ×4, first 2 shown]
	v_add_f64 v[24:25], v[100:101], v[24:25]
	v_mul_f64 v[116:117], v[220:221], s[26:27]
	v_fma_f64 v[18:19], v[212:213], s[12:13], -v[114:115]
	v_fma_f64 v[20:21], v[200:201], s[26:27], -v[118:119]
	v_add_f64 v[22:23], v[22:23], v[24:25]
	v_mul_f64 v[30:31], v[226:227], s[20:21]
	v_fma_f64 v[114:115], s[38:39], v[194:195], v[116:117]
	v_add_f64 v[20:21], v[20:21], v[22:23]
	v_mul_f64 v[26:27], v[242:243], s[12:13]
	v_fma_f64 v[112:113], s[28:29], v[198:199], v[30:31]
	v_add_f64 v[114:115], v[102:103], v[114:115]
	v_mul_f64 v[36:37], v[204:205], s[36:37]
	v_add_f64 v[18:19], v[18:19], v[20:21]
	v_mul_f64 v[22:23], v[254:255], s[30:31]
	v_fma_f64 v[28:29], s[48:49], v[210:211], v[26:27]
	v_add_f64 v[112:113], v[112:113], v[114:115]
	v_mul_f64 v[32:33], v[208:209], s[40:41]
	v_fma_f64 v[38:39], s[26:27], v[146:147], v[36:37]
	;; [unrolled: 3-line block ×4, first 2 shown]
	v_add_f64 v[38:39], v[100:101], v[38:39]
	v_add_f64 v[108:109], v[14:15], v[16:17]
	v_mul_f64 v[14:15], v[2:3], s[22:23]
	v_fma_f64 v[20:21], s[18:19], v[248:249], v[18:19]
	v_add_f64 v[24:25], v[24:25], v[28:29]
	v_mul_f64 v[124:125], v[244:245], s[46:47]
	v_fma_f64 v[118:119], s[12:13], v[200:201], v[126:127]
	v_add_f64 v[34:35], v[34:35], v[38:39]
	v_fma_f64 v[16:17], s[42:43], v[8:9], v[14:15]
	v_add_f64 v[20:21], v[20:21], v[24:25]
	v_mul_f64 v[24:25], v[246:247], s[44:45]
	v_fma_f64 v[112:113], s[30:31], v[212:213], v[124:125]
	v_add_f64 v[34:35], v[118:119], v[34:35]
	v_add_f64 v[114:115], v[16:17], v[20:21]
	v_mul_f64 v[16:17], v[10:11], s[24:25]
	v_fma_f64 v[28:29], s[0:1], v[232:233], v[24:25]
	v_add_f64 v[34:35], v[112:113], v[34:35]
	v_fma_f64 v[20:21], s[22:23], v[250:251], v[16:17]
	v_add_f64 v[28:29], v[28:29], v[34:35]
	v_fmac_f64_e32 v[116:117], s[36:37], v[194:195]
	v_add_f64 v[112:113], v[20:21], v[28:29]
	v_fmac_f64_e32 v[30:31], s[40:41], v[198:199]
	;; [unrolled: 2-line block ×6, first 2 shown]
	v_add_f64 v[18:19], v[18:19], v[20:21]
	v_add_f64 v[118:119], v[14:15], v[18:19]
	v_fma_f64 v[14:15], v[250:251], s[22:23], -v[16:17]
	v_fma_f64 v[16:17], v[232:233], s[0:1], -v[24:25]
	;; [unrolled: 1-line block ×4, first 2 shown]
	v_add_f64 v[24:25], v[100:101], v[24:25]
	v_mul_f64 v[34:35], v[220:221], s[22:23]
	v_fma_f64 v[20:21], v[200:201], s[12:13], -v[126:127]
	v_add_f64 v[22:23], v[22:23], v[24:25]
	v_mul_f64 v[30:31], v[226:227], s[26:27]
	v_fma_f64 v[36:37], s[42:43], v[194:195], v[34:35]
	v_fma_f64 v[18:19], v[212:213], s[30:31], -v[124:125]
	v_add_f64 v[20:21], v[20:21], v[22:23]
	v_mul_f64 v[26:27], v[242:243], s[0:1]
	v_fma_f64 v[32:33], s[36:37], v[198:199], v[30:31]
	v_add_f64 v[36:37], v[102:103], v[36:37]
	v_mul_f64 v[44:45], v[204:205], s[24:25]
	v_add_f64 v[18:19], v[18:19], v[20:21]
	v_mul_f64 v[22:23], v[254:255], s[20:21]
	v_fma_f64 v[28:29], s[18:19], v[210:211], v[26:27]
	v_add_f64 v[32:33], v[32:33], v[36:37]
	v_mul_f64 v[40:41], v[208:209], s[38:39]
	v_mov_b32_e32 v12, v47
	v_fma_f64 v[46:47], s[22:23], v[146:147], v[44:45]
	v_add_f64 v[16:17], v[16:17], v[18:19]
	v_mul_f64 v[18:19], v[0:1], s[30:31]
	v_fma_f64 v[24:25], s[40:41], v[230:231], v[22:23]
	v_add_f64 v[28:29], v[28:29], v[32:33]
	v_mul_f64 v[38:39], v[228:229], s[44:45]
	v_fma_f64 v[42:43], s[26:27], v[148:149], v[40:41]
	v_add_f64 v[46:47], v[100:101], v[46:47]
	v_add_f64 v[116:117], v[14:15], v[16:17]
	v_mul_f64 v[14:15], v[2:3], s[12:13]
	v_fma_f64 v[20:21], s[34:35], v[248:249], v[18:19]
	v_add_f64 v[24:25], v[24:25], v[28:29]
	v_mul_f64 v[32:33], v[244:245], s[28:29]
	v_fma_f64 v[124:125], s[0:1], v[200:201], v[38:39]
	v_add_f64 v[42:43], v[42:43], v[46:47]
	v_fma_f64 v[16:17], s[14:15], v[8:9], v[14:15]
	v_add_f64 v[20:21], v[20:21], v[24:25]
	v_mul_f64 v[24:25], v[246:247], s[46:47]
	v_fma_f64 v[36:37], s[20:21], v[212:213], v[32:33]
	v_add_f64 v[42:43], v[124:125], v[42:43]
	v_add_f64 v[126:127], v[16:17], v[20:21]
	v_mul_f64 v[20:21], v[10:11], s[48:49]
	v_fma_f64 v[28:29], s[30:31], v[232:233], v[24:25]
	v_add_f64 v[36:37], v[36:37], v[42:43]
	v_fma_f64 v[16:17], s[12:13], v[250:251], v[20:21]
	v_add_f64 v[28:29], v[28:29], v[36:37]
	v_fmac_f64_e32 v[34:35], s[24:25], v[194:195]
	v_add_f64 v[124:125], v[16:17], v[28:29]
	v_fmac_f64_e32 v[30:31], s[38:39], v[198:199]
	;; [unrolled: 2-line block ×5, first 2 shown]
	v_add_f64 v[16:17], v[22:23], v[16:17]
	v_fma_f64 v[22:23], v[200:201], s[0:1], -v[38:39]
	v_fma_f64 v[26:27], v[146:147], s[22:23], -v[44:45]
	v_mul_f64 v[38:39], v[220:221], s[20:21]
	v_accvgpr_write_b32 a48, v48
	v_add_f64 v[16:17], v[18:19], v[16:17]
	v_fma_f64 v[18:19], v[232:233], s[30:31], -v[24:25]
	v_fma_f64 v[24:25], v[148:149], s[26:27], -v[40:41]
	v_add_f64 v[26:27], v[100:101], v[26:27]
	v_mul_f64 v[34:35], v[226:227], s[30:31]
	v_fma_f64 v[40:41], s[40:41], v[194:195], v[38:39]
	v_accvgpr_write_b32 a66, v120
	v_accvgpr_write_b32 a49, v49
	;; [unrolled: 1-line block ×4, first 2 shown]
	v_mul_f64 v[48:49], v[204:205], s[28:29]
	v_mul_f64 v[4:5], v[146:147], s[0:1]
	v_fmac_f64_e32 v[14:15], s[48:49], v[8:9]
	v_add_f64 v[24:25], v[24:25], v[26:27]
	v_mul_f64 v[30:31], v[242:243], s[22:23]
	v_fma_f64 v[36:37], s[46:47], v[198:199], v[34:35]
	v_add_f64 v[40:41], v[102:103], v[40:41]
	v_accvgpr_write_b32 a67, v121
	v_accvgpr_write_b32 a68, v122
	;; [unrolled: 1-line block ×3, first 2 shown]
	v_mul_f64 v[120:121], v[208:209], s[34:35]
	v_fma_f64 v[50:51], s[20:21], v[146:147], v[48:49]
	v_accvgpr_write_b32 a71, v5
	v_add_f64 v[16:17], v[14:15], v[16:17]
	v_fma_f64 v[14:15], v[250:251], s[12:13], -v[20:21]
	v_fma_f64 v[20:21], v[212:213], s[20:21], -v[32:33]
	v_add_f64 v[22:23], v[22:23], v[24:25]
	v_mul_f64 v[26:27], v[254:255], s[0:1]
	v_fma_f64 v[32:33], s[24:25], v[210:211], v[30:31]
	v_add_f64 v[36:37], v[36:37], v[40:41]
	v_mul_f64 v[44:45], v[228:229], s[42:43]
	v_fma_f64 v[122:123], s[30:31], v[148:149], v[120:121]
	v_add_f64 v[50:51], v[100:101], v[50:51]
	v_accvgpr_write_b32 a70, v4
	v_mul_f64 v[4:5], v[220:221], s[0:1]
	v_add_f64 v[20:21], v[20:21], v[22:23]
	v_mul_f64 v[24:25], v[0:1], s[12:13]
	v_fma_f64 v[28:29], s[18:19], v[230:231], v[26:27]
	v_add_f64 v[32:33], v[32:33], v[36:37]
	v_mul_f64 v[40:41], v[244:245], s[44:45]
	v_fma_f64 v[46:47], s[22:23], v[200:201], v[44:45]
	v_add_f64 v[50:51], v[122:123], v[50:51]
	v_accvgpr_write_b32 a81, v5
	v_add_f64 v[18:19], v[18:19], v[20:21]
	v_mul_f64 v[22:23], v[2:3], s[26:27]
	v_fma_f64 v[20:21], s[48:49], v[248:249], v[24:25]
	v_add_f64 v[28:29], v[28:29], v[32:33]
	v_mul_f64 v[32:33], v[246:247], s[14:15]
	v_fma_f64 v[42:43], s[0:1], v[212:213], v[40:41]
	v_add_f64 v[46:47], v[46:47], v[50:51]
	v_accvgpr_write_b32 a80, v4
	v_mul_f64 v[4:5], v[148:149], s[12:13]
	v_add_f64 v[14:15], v[14:15], v[18:19]
	v_fma_f64 v[18:19], s[38:39], v[8:9], v[22:23]
	v_add_f64 v[20:21], v[20:21], v[28:29]
	v_mul_f64 v[28:29], v[10:11], s[36:37]
	v_fma_f64 v[36:37], s[12:13], v[232:233], v[32:33]
	v_add_f64 v[42:43], v[42:43], v[46:47]
	v_accvgpr_write_b32 a73, v5
	v_add_f64 v[20:21], v[18:19], v[20:21]
	v_fma_f64 v[18:19], s[26:27], v[250:251], v[28:29]
	v_add_f64 v[36:37], v[36:37], v[42:43]
	v_fmac_f64_e32 v[38:39], s[28:29], v[194:195]
	v_accvgpr_write_b32 a72, v4
	v_mul_f64 v[4:5], v[226:227], s[12:13]
	v_add_f64 v[18:19], v[18:19], v[36:37]
	v_fmac_f64_e32 v[34:35], s[34:35], v[198:199]
	v_add_f64 v[36:37], v[102:103], v[38:39]
	v_accvgpr_write_b32 a85, v5
	v_fmac_f64_e32 v[30:31], s[42:43], v[210:211]
	v_add_f64 v[34:35], v[34:35], v[36:37]
	v_accvgpr_write_b32 a84, v4
	v_mul_f64 v[4:5], v[200:201], s[20:21]
	v_fmac_f64_e32 v[26:27], s[44:45], v[230:231]
	v_add_f64 v[30:31], v[30:31], v[34:35]
	v_accvgpr_write_b32 a75, v5
	v_fmac_f64_e32 v[24:25], s[14:15], v[248:249]
	v_add_f64 v[26:27], v[26:27], v[30:31]
	v_fma_f64 v[34:35], v[146:147], s[20:21], -v[48:49]
	v_accvgpr_write_b32 a74, v4
	v_mul_f64 v[4:5], v[242:243], s[20:21]
	v_add_f64 v[24:25], v[24:25], v[26:27]
	v_fma_f64 v[26:27], v[232:233], s[12:13], -v[32:33]
	v_fma_f64 v[32:33], v[148:149], s[30:31], -v[120:121]
	v_add_f64 v[34:35], v[100:101], v[34:35]
	v_accvgpr_write_b32 a87, v5
	v_fmac_f64_e32 v[22:23], s[36:37], v[8:9]
	v_fma_f64 v[30:31], v[200:201], s[22:23], -v[44:45]
	v_add_f64 v[32:33], v[32:33], v[34:35]
	v_accvgpr_write_b32 a86, v4
	v_mul_f64 v[4:5], v[212:213], s[22:23]
	v_add_f64 v[24:25], v[22:23], v[24:25]
	v_fma_f64 v[22:23], v[250:251], s[26:27], -v[28:29]
	v_fma_f64 v[28:29], v[212:213], s[0:1], -v[40:41]
	v_add_f64 v[30:31], v[30:31], v[32:33]
	v_accvgpr_write_b32 a77, v5
	v_add_f64 v[28:29], v[28:29], v[30:31]
	v_mul_f64 v[42:43], v[220:221], s[12:13]
	v_accvgpr_write_b32 a76, v4
	v_mul_f64 v[4:5], v[254:255], s[22:23]
	v_mul_f64 v[6:7], v[250:251], s[30:31]
	v_add_f64 v[26:27], v[26:27], v[28:29]
	v_mul_f64 v[38:39], v[226:227], s[22:23]
	v_fma_f64 v[44:45], s[48:49], v[194:195], v[42:43]
	v_mul_f64 v[122:123], v[204:205], s[14:15]
	v_accvgpr_write_b32 a89, v5
	v_accvgpr_write_b32 a83, v7
	v_add_f64 v[22:23], v[22:23], v[26:27]
	v_mul_f64 v[26:27], v[2:3], s[0:1]
	v_mul_f64 v[34:35], v[242:243], s[30:31]
	v_fma_f64 v[40:41], s[42:43], v[198:199], v[38:39]
	v_add_f64 v[44:45], v[102:103], v[44:45]
	v_mul_f64 v[50:51], v[208:209], s[24:25]
	v_fma_f64 v[204:205], s[12:13], v[146:147], v[122:123]
	v_fmac_f64_e32 v[42:43], s[14:15], v[194:195]
	v_accvgpr_write_b32 a88, v4
	v_mul_f64 v[4:5], v[232:233], s[26:27]
	v_accvgpr_write_b32 a82, v6
	v_mul_f64 v[6:7], v[2:3], s[30:31]
	v_fma_f64 v[2:3], s[18:19], v[8:9], v[26:27]
	v_mul_f64 v[30:31], v[254:255], s[26:27]
	v_fma_f64 v[36:37], s[46:47], v[210:211], v[34:35]
	v_add_f64 v[40:41], v[40:41], v[44:45]
	v_mul_f64 v[46:47], v[228:229], s[34:35]
	v_fma_f64 v[120:121], s[22:23], v[148:149], v[50:51]
	v_add_f64 v[204:205], v[100:101], v[204:205]
	v_fmac_f64_e32 v[26:27], s[44:45], v[8:9]
	v_fmac_f64_e32 v[38:39], s[24:25], v[198:199]
	v_add_f64 v[8:9], v[102:103], v[42:43]
	v_accvgpr_write_b32 a79, v5
	v_mul_f64 v[28:29], v[0:1], s[20:21]
	v_fma_f64 v[32:33], s[36:37], v[230:231], v[30:31]
	v_add_f64 v[36:37], v[36:37], v[40:41]
	v_mul_f64 v[40:41], v[244:245], s[38:39]
	v_fma_f64 v[48:49], s[30:31], v[200:201], v[46:47]
	v_add_f64 v[120:121], v[120:121], v[204:205]
	v_fmac_f64_e32 v[34:35], s[34:35], v[210:211]
	v_add_f64 v[8:9], v[38:39], v[8:9]
	v_accvgpr_write_b32 a78, v4
	v_mul_f64 v[4:5], v[0:1], s[26:27]
	v_fma_f64 v[0:1], s[28:29], v[248:249], v[28:29]
	v_add_f64 v[32:33], v[32:33], v[36:37]
	v_mul_f64 v[36:37], v[246:247], s[40:41]
	v_fma_f64 v[44:45], s[26:27], v[212:213], v[40:41]
	v_add_f64 v[48:49], v[48:49], v[120:121]
	v_fmac_f64_e32 v[30:31], s[38:39], v[230:231]
	v_add_f64 v[8:9], v[34:35], v[8:9]
	v_add_f64 v[0:1], v[0:1], v[32:33]
	v_mul_f64 v[32:33], v[10:11], s[44:45]
	v_fma_f64 v[10:11], s[20:21], v[232:233], v[36:37]
	v_add_f64 v[44:45], v[44:45], v[48:49]
	v_fmac_f64_e32 v[28:29], s[40:41], v[248:249]
	v_add_f64 v[8:9], v[30:31], v[8:9]
	v_add_f64 v[2:3], v[2:3], v[0:1]
	v_fma_f64 v[0:1], s[0:1], v[250:251], v[32:33]
	v_add_f64 v[10:11], v[10:11], v[44:45]
	v_add_f64 v[8:9], v[28:29], v[8:9]
	v_fma_f64 v[34:35], v[146:147], s[12:13], -v[122:123]
	v_add_f64 v[0:1], v[0:1], v[10:11]
	v_add_f64 v[10:11], v[26:27], v[8:9]
	v_fma_f64 v[8:9], v[250:251], s[0:1], -v[32:33]
	v_fma_f64 v[32:33], v[148:149], s[22:23], -v[50:51]
	v_add_f64 v[34:35], v[100:101], v[34:35]
	v_fma_f64 v[30:31], v[200:201], s[30:31], -v[46:47]
	v_add_f64 v[32:33], v[32:33], v[34:35]
	;; [unrolled: 2-line block ×3, first 2 shown]
	v_accvgpr_read_b32 v32, a80
	v_fma_f64 v[26:27], v[232:233], s[20:21], -v[36:37]
	v_add_f64 v[28:29], v[28:29], v[30:31]
	v_accvgpr_read_b32 v30, a84
	v_accvgpr_read_b32 v33, a81
	v_add_f64 v[26:27], v[26:27], v[28:29]
	v_accvgpr_read_b32 v28, a86
	v_accvgpr_read_b32 v31, a85
	v_add_f64 v[32:33], v[144:145], v[32:33]
	v_add_f64 v[8:9], v[8:9], v[26:27]
	v_accvgpr_read_b32 v26, a88
	v_accvgpr_read_b32 v29, a87
	v_add_f64 v[30:31], v[150:151], v[30:31]
	v_add_f64 v[32:33], v[102:103], v[32:33]
	v_accvgpr_read_b32 v34, a70
	v_accvgpr_read_b32 v27, a89
	v_add_f64 v[28:29], v[202:203], v[28:29]
	v_add_f64 v[30:31], v[30:31], v[32:33]
	v_accvgpr_read_b32 v32, a72
	v_accvgpr_read_b32 v35, a71
	v_add_f64 v[26:27], v[214:215], v[26:27]
	v_add_f64 v[28:29], v[28:29], v[30:31]
	v_accvgpr_read_b32 v30, a74
	v_accvgpr_read_b32 v33, a73
	v_add_f64 v[34:35], v[34:35], -v[140:141]
	v_add_f64 v[4:5], v[234:235], v[4:5]
	v_add_f64 v[26:27], v[26:27], v[28:29]
	v_accvgpr_read_b32 v28, a76
	v_accvgpr_read_b32 v31, a75
	v_add_f64 v[32:33], v[32:33], -v[142:143]
	v_add_f64 v[34:35], v[100:101], v[34:35]
	v_add_f64 v[6:7], v[252:253], v[6:7]
	;; [unrolled: 1-line block ×3, first 2 shown]
	v_accvgpr_read_b32 v26, a78
	v_accvgpr_read_b32 v29, a77
	v_add_f64 v[30:31], v[30:31], -v[196:197]
	v_add_f64 v[32:33], v[32:33], v[34:35]
	v_add_f64 v[6:7], v[6:7], v[4:5]
	v_accvgpr_read_b32 v4, a82
	v_accvgpr_read_b32 v27, a79
	v_add_f64 v[28:29], v[28:29], -v[206:207]
	v_add_f64 v[30:31], v[30:31], v[32:33]
	v_accvgpr_read_b32 v5, a83
	v_add_f64 v[26:27], v[26:27], -v[224:225]
	v_add_f64 v[28:29], v[28:29], v[30:31]
	v_add_f64 v[4:5], v[4:5], -v[240:241]
	v_add_f64 v[26:27], v[26:27], v[28:29]
	v_add_f64 v[4:5], v[4:5], v[26:27]
	;; [unrolled: 1-line block ×23, first 2 shown]
	v_mov_b32_e32 v47, v12
	v_add_f64 v[26:27], v[26:27], v[134:135]
	v_mul_u32_u24_e32 v12, 52, v97
	v_accvgpr_read_b32 v48, a48
	v_accvgpr_read_b32 v123, a69
	v_add_f64 v[26:27], v[26:27], v[136:137]
	v_or_b32_e32 v12, v12, v96
	v_accvgpr_read_b32 v49, a49
	v_accvgpr_read_b32 v50, a50
	;; [unrolled: 1-line block ×6, first 2 shown]
	v_add_f64 v[100:101], v[26:27], v[138:139]
	v_lshl_add_u32 v12, v12, 4, v98
	ds_write_b128 v12, v[100:103]
	ds_write_b128 v12, v[4:7] offset:64
	ds_write_b128 v12, v[8:11] offset:128
	;; [unrolled: 1-line block ×12, first 2 shown]
.LBB0_5:
	s_or_b64 exec, exec, s[16:17]
	s_movk_i32 s0, 0xffcc
	s_mov_b32 s1, -1
	v_lshl_add_u64 v[0:1], v[236:237], 0, s[0:1]
	v_cmp_gt_u16_e64 s[0:1], 52, v236
	s_waitcnt lgkmcnt(0)
	s_barrier
	v_cndmask_b32_e64 v1, v1, 0, s[0:1]
	v_cndmask_b32_e64 v0, v0, v236, s[0:1]
	v_lshl_add_u64 v[6:7], v[0:1], 4, s[10:11]
	ds_read_b128 v[148:151], v239
	ds_read_b128 v[2:5], v239 offset:7488
	ds_read_b128 v[144:147], v239 offset:1248
	;; [unrolled: 1-line block ×11, first 2 shown]
	global_load_dwordx4 v[100:103], v[6:7], off offset:800
	s_movk_i32 s0, 0x4f
	v_mul_lo_u16_sdwa v1, v184, s0 dst_sel:DWORD dst_unused:UNUSED_PAD src0_sel:BYTE_0 src1_sel:DWORD
	v_lshrrev_b16_e32 v1, 12, v1
	v_mov_b32_e32 v10, 4
	v_mul_lo_u16_sdwa v190, v218, s0 dst_sel:DWORD dst_unused:UNUSED_PAD src0_sel:BYTE_0 src1_sel:DWORD
	s_movk_i32 s0, 0x4ec5
	v_lshlrev_b32_e32 v222, 4, v236
	v_lshl_add_u64 v[220:221], s[8:9], 0, v[222:223]
	s_movk_i32 s8, 0x68
	v_lshlrev_b32_e32 v222, 4, v13
	v_lshl_add_u64 v[224:225], s[10:11], 0, v[222:223]
	s_mov_b32 s13, 0xbfebb67a
	s_movk_i32 s16, 0x1000
	s_mov_b64 s[14:15], 0x1360
	v_lshl_add_u32 v99, v236, 4, v98
	s_waitcnt vmcnt(0) lgkmcnt(10)
	v_mul_f64 v[6:7], v[4:5], v[102:103]
	v_fma_f64 v[8:9], v[2:3], v[100:101], -v[6:7]
	v_mul_f64 v[6:7], v[2:3], v[102:103]
	v_mul_lo_u16_e32 v2, 52, v1
	v_sub_u16_e32 v12, v184, v2
	v_lshlrev_b32_sdwa v2, v10, v12 dst_sel:DWORD dst_unused:UNUSED_PAD src0_sel:DWORD src1_sel:BYTE_0
	global_load_dwordx4 v[104:107], v2, s[10:11] offset:800
	v_fmac_f64_e32 v[6:7], v[4:5], v[100:101]
	v_add_f64 v[8:9], v[148:149], -v[8:9]
	s_waitcnt vmcnt(0) lgkmcnt(8)
	v_mul_f64 v[2:3], v[16:17], v[106:107]
	v_fma_f64 v[4:5], v[14:15], v[104:105], -v[2:3]
	v_mul_f64 v[2:3], v[14:15], v[106:107]
	v_lshrrev_b16_e32 v15, 12, v190
	v_mul_lo_u16_e32 v11, 52, v15
	v_sub_u16_e32 v40, v218, v11
	v_lshlrev_b32_sdwa v10, v10, v40 dst_sel:DWORD dst_unused:UNUSED_PAD src0_sel:DWORD src1_sel:BYTE_0
	global_load_dwordx4 v[108:111], v10, s[10:11] offset:800
	v_mul_u32_u24_sdwa v14, v216, s0 dst_sel:DWORD dst_unused:UNUSED_PAD src0_sel:WORD_0 src1_sel:DWORD
	v_lshrrev_b32_e32 v41, 20, v14
	v_fmac_f64_e32 v[2:3], v[16:17], v[104:105]
	v_add_f64 v[4:5], v[144:145], -v[4:5]
	v_fma_f64 v[16:17], v[148:149], 2.0, -v[8:9]
	v_lshrrev_b32_e32 v14, 21, v14
	v_mul_lo_u16_e32 v14, 0x68, v14
	s_waitcnt vmcnt(0) lgkmcnt(6)
	v_mul_f64 v[10:11], v[20:21], v[110:111]
	v_fma_f64 v[26:27], v[18:19], v[108:109], -v[10:11]
	v_mul_lo_u16_e32 v10, 52, v41
	v_sub_u16_e32 v42, v216, v10
	v_lshlrev_b32_e32 v10, 4, v42
	global_load_dwordx4 v[112:115], v10, s[10:11] offset:800
	v_mul_f64 v[28:29], v[18:19], v[110:111]
	v_fmac_f64_e32 v[28:29], v[20:21], v[108:109]
	v_fma_f64 v[20:21], v[144:145], 2.0, -v[4:5]
	v_add_f64 v[144:145], v[140:141], -v[26:27]
	v_fma_f64 v[140:141], v[140:141], 2.0, -v[144:145]
	s_waitcnt vmcnt(0) lgkmcnt(4)
	v_mul_f64 v[10:11], v[24:25], v[114:115]
	v_fma_f64 v[30:31], v[22:23], v[112:113], -v[10:11]
	v_mul_u32_u24_sdwa v10, v158, s0 dst_sel:DWORD dst_unused:UNUSED_PAD src0_sel:WORD_0 src1_sel:DWORD
	v_lshrrev_b32_e32 v43, 20, v10
	v_mul_lo_u16_e32 v10, 52, v43
	v_sub_u16_e32 v44, v158, v10
	v_lshlrev_b32_e32 v10, 4, v44
	global_load_dwordx4 v[116:119], v10, s[10:11] offset:800
	v_mul_f64 v[32:33], v[22:23], v[114:115]
	v_fmac_f64_e32 v[32:33], v[24:25], v[112:113]
	v_add_f64 v[148:149], v[136:137], -v[30:31]
	v_fma_f64 v[136:137], v[136:137], 2.0, -v[148:149]
	s_waitcnt vmcnt(0) lgkmcnt(2)
	v_mul_f64 v[10:11], v[126:127], v[118:119]
	v_fma_f64 v[24:25], v[124:125], v[116:117], -v[10:11]
	v_mul_u32_u24_sdwa v10, v156, s0 dst_sel:DWORD dst_unused:UNUSED_PAD src0_sel:WORD_0 src1_sel:DWORD
	v_lshrrev_b32_e32 v45, 20, v10
	v_mul_lo_u16_e32 v10, 52, v45
	v_sub_u16_e32 v46, v156, v10
	v_mul_f64 v[34:35], v[124:125], v[118:119]
	v_lshlrev_b32_e32 v10, 4, v46
	v_fmac_f64_e32 v[34:35], v[126:127], v[116:117]
	global_load_dwordx4 v[124:127], v10, s[10:11] offset:800
	v_cmp_lt_u16_e64 s[0:1], 51, v236
	s_waitcnt lgkmcnt(0)
	s_barrier
	s_waitcnt vmcnt(0)
	v_mul_f64 v[10:11], v[154:155], v[126:127]
	v_fma_f64 v[36:37], v[152:153], v[124:125], -v[10:11]
	v_add_f64 v[10:11], v[150:151], -v[6:7]
	v_add_f64 v[6:7], v[146:147], -v[2:3]
	v_mov_b32_e32 v2, 0x68
	v_cndmask_b32_e64 v2, 0, v2, s[0:1]
	v_add_u32_e32 v0, v0, v2
	v_lshl_add_u32 v244, v0, 4, v98
	v_mul_u32_u24_e32 v0, 0x68, v1
	v_add_u32_sdwa v0, v0, v12 dst_sel:DWORD dst_unused:UNUSED_PAD src0_sel:DWORD src1_sel:BYTE_0
	v_lshl_add_u32 v245, v0, 4, v98
	v_mul_u32_u24_e32 v0, 0x68, v15
	v_add_u32_sdwa v0, v0, v40 dst_sel:DWORD dst_unused:UNUSED_PAD src0_sel:DWORD src1_sel:BYTE_0
	v_mul_f64 v[38:39], v[152:153], v[126:127]
	v_lshl_add_u32 v246, v0, 4, v98
	v_mad_legacy_u16 v0, v41, s8, v42
	v_fmac_f64_e32 v[38:39], v[154:155], v[124:125]
	v_lshl_add_u32 v247, v0, 4, v98
	v_mad_legacy_u16 v0, v43, s8, v44
	v_fma_f64 v[18:19], v[150:151], 2.0, -v[10:11]
	v_fma_f64 v[22:23], v[146:147], 2.0, -v[6:7]
	v_add_f64 v[146:147], v[142:143], -v[28:29]
	v_add_f64 v[150:151], v[138:139], -v[32:33]
	;; [unrolled: 1-line block ×6, first 2 shown]
	v_lshl_add_u32 v44, v0, 4, v98
	v_mad_legacy_u16 v0, v45, s8, v46
	v_fma_f64 v[142:143], v[142:143], 2.0, -v[146:147]
	v_fma_f64 v[138:139], v[138:139], 2.0, -v[150:151]
	;; [unrolled: 1-line block ×6, first 2 shown]
	v_lshl_add_u32 v45, v0, 4, v98
	ds_write_b128 v244, v[16:19]
	ds_write_b128 v244, v[8:11] offset:832
	ds_write_b128 v245, v[20:23]
	ds_write_b128 v245, v[4:7] offset:832
	;; [unrolled: 2-line block ×6, first 2 shown]
	s_waitcnt lgkmcnt(0)
	s_barrier
	ds_read_b128 v[172:175], v239
	ds_read_b128 v[2:5], v239 offset:4992
	ds_read_b128 v[6:9], v239 offset:9984
	;; [unrolled: 1-line block ×11, first 2 shown]
	global_load_dwordx4 v[128:131], v222, s[10:11] offset:1648
	global_load_dwordx4 v[132:135], v222, s[10:11] offset:1632
	s_movk_i32 s0, 0xffe6
	s_mov_b32 s1, -1
	v_lshrrev_b16_e32 v12, 13, v190
	v_mul_lo_u16_e32 v13, 0x68, v12
	v_sub_u16_e32 v13, v218, v13
	v_mov_b32_e32 v15, 5
	v_lshlrev_b32_sdwa v15, v15, v13 dst_sel:DWORD dst_unused:UNUSED_PAD src0_sel:DWORD src1_sel:BYTE_0
	v_sub_u16_e32 v36, v216, v14
	v_lshlrev_b16_e32 v222, 5, v36
	s_mov_b32 s8, 0xe8584caa
	s_mov_b32 s9, 0x3febb67a
	;; [unrolled: 1-line block ×3, first 2 shown]
	v_lshl_add_u32 v249, v36, 4, v98
	s_waitcnt vmcnt(0) lgkmcnt(10)
	v_mul_f64 v[0:1], v[4:5], v[134:135]
	v_fma_f64 v[0:1], v[2:3], v[132:133], -v[0:1]
	v_mul_f64 v[2:3], v[2:3], v[134:135]
	v_fmac_f64_e32 v[2:3], v[4:5], v[132:133]
	s_waitcnt lgkmcnt(9)
	v_mul_f64 v[4:5], v[8:9], v[130:131]
	v_fma_f64 v[4:5], v[6:7], v[128:129], -v[4:5]
	v_mul_f64 v[6:7], v[6:7], v[130:131]
	v_fmac_f64_e32 v[6:7], v[8:9], v[128:129]
	v_lshl_add_u64 v[8:9], v[236:237], 0, s[0:1]
	v_cmp_gt_u16_e64 s[0:1], 26, v236
	s_nop 1
	v_cndmask_b32_e64 v185, v9, v185, s[0:1]
	v_cndmask_b32_e64 v184, v8, v184, s[0:1]
	v_lshlrev_b64 v[8:9], 5, v[184:185]
	v_lshl_add_u64 v[8:9], s[10:11], 0, v[8:9]
	global_load_dwordx4 v[136:139], v[8:9], off offset:1648
	global_load_dwordx4 v[140:143], v[8:9], off offset:1632
	global_load_dwordx4 v[144:147], v15, s[10:11] offset:1648
	global_load_dwordx4 v[148:151], v15, s[10:11] offset:1632
	v_lshl_add_u64 v[14:15], s[10:11], 0, v[222:223]
	v_cmp_lt_u16_e64 s[0:1], 25, v236
	v_lshlrev_b32_e32 v222, 4, v219
	s_waitcnt vmcnt(3) lgkmcnt(6)
	v_mul_f64 v[188:189], v[20:21], v[138:139]
	s_waitcnt vmcnt(2)
	v_mul_f64 v[8:9], v[18:19], v[142:143]
	v_fma_f64 v[8:9], v[16:17], v[140:141], -v[8:9]
	v_mul_f64 v[10:11], v[16:17], v[142:143]
	v_mul_f64 v[16:17], v[22:23], v[138:139]
	v_fma_f64 v[186:187], v[20:21], v[136:137], -v[16:17]
	s_waitcnt vmcnt(0) lgkmcnt(4)
	v_mul_f64 v[16:17], v[158:159], v[150:151]
	v_fma_f64 v[190:191], v[156:157], v[148:149], -v[16:17]
	v_mul_f64 v[192:193], v[156:157], v[150:151]
	s_waitcnt lgkmcnt(3)
	v_mul_f64 v[16:17], v[154:155], v[146:147]
	v_mul_f64 v[196:197], v[152:153], v[146:147]
	v_fmac_f64_e32 v[192:193], v[158:159], v[148:149]
	v_fma_f64 v[194:195], v[152:153], v[144:145], -v[16:17]
	v_fmac_f64_e32 v[196:197], v[154:155], v[144:145]
	global_load_dwordx4 v[152:155], v[14:15], off offset:1648
	global_load_dwordx4 v[156:159], v[14:15], off offset:1632
	v_add_f64 v[16:17], v[0:1], v[4:5]
	v_fmac_f64_e32 v[10:11], v[18:19], v[140:141]
	v_fmac_f64_e32 v[188:189], v[22:23], v[136:137]
	s_waitcnt lgkmcnt(0)
	s_barrier
	v_add_f64 v[24:25], v[192:193], v[196:197]
	v_add_f64 v[34:35], v[190:191], -v[194:195]
	s_waitcnt vmcnt(1)
	v_mul_f64 v[32:33], v[176:177], v[154:155]
	s_waitcnt vmcnt(0)
	v_mul_f64 v[14:15], v[182:183], v[158:159]
	v_fma_f64 v[26:27], v[180:181], v[156:157], -v[14:15]
	v_mul_f64 v[14:15], v[178:179], v[154:155]
	v_fma_f64 v[30:31], v[176:177], v[152:153], -v[14:15]
	v_add_f64 v[14:15], v[172:173], v[0:1]
	v_fmac_f64_e32 v[172:173], -0.5, v[16:17]
	v_add_f64 v[16:17], v[2:3], -v[6:7]
	v_fma_f64 v[18:19], s[8:9], v[16:17], v[172:173]
	v_fmac_f64_e32 v[172:173], s[12:13], v[16:17]
	v_add_f64 v[16:17], v[174:175], v[2:3]
	v_add_f64 v[2:3], v[2:3], v[6:7]
	v_fmac_f64_e32 v[174:175], -0.5, v[2:3]
	v_add_f64 v[0:1], v[0:1], -v[4:5]
	v_add_f64 v[2:3], v[8:9], v[186:187]
	v_add_f64 v[14:15], v[14:15], v[4:5]
	v_add_f64 v[16:17], v[16:17], v[6:7]
	v_fma_f64 v[20:21], s[12:13], v[0:1], v[174:175]
	v_fmac_f64_e32 v[174:175], s[8:9], v[0:1]
	v_add_f64 v[0:1], v[168:169], v[8:9]
	v_fmac_f64_e32 v[168:169], -0.5, v[2:3]
	v_add_f64 v[2:3], v[10:11], -v[188:189]
	v_add_f64 v[6:7], v[10:11], v[188:189]
	v_fma_f64 v[4:5], s[8:9], v[2:3], v[168:169]
	v_fmac_f64_e32 v[168:169], s[12:13], v[2:3]
	v_add_f64 v[2:3], v[170:171], v[10:11]
	v_fmac_f64_e32 v[170:171], -0.5, v[6:7]
	v_add_f64 v[8:9], v[8:9], -v[186:187]
	v_add_f64 v[10:11], v[190:191], v[194:195]
	ds_write_b128 v239, v[14:17]
	ds_write_b128 v239, v[18:21] offset:1664
	ds_write_b128 v239, v[172:175] offset:3328
	v_mov_b32_e32 v14, 0x138
	v_fma_f64 v[6:7], s[12:13], v[8:9], v[170:171]
	v_fmac_f64_e32 v[170:171], s[8:9], v[8:9]
	v_add_f64 v[8:9], v[164:165], v[190:191]
	v_fmac_f64_e32 v[164:165], -0.5, v[10:11]
	v_add_f64 v[10:11], v[192:193], -v[196:197]
	v_cndmask_b32_e64 v14, 0, v14, s[0:1]
	v_fma_f64 v[22:23], s[8:9], v[10:11], v[164:165]
	v_fmac_f64_e32 v[164:165], s[12:13], v[10:11]
	v_add_f64 v[10:11], v[166:167], v[192:193]
	v_fmac_f64_e32 v[166:167], -0.5, v[24:25]
	v_add_u32_e32 v14, v184, v14
	v_mul_f64 v[28:29], v[180:181], v[158:159]
	v_add_f64 v[0:1], v[0:1], v[186:187]
	v_add_f64 v[2:3], v[2:3], v[188:189]
	v_fma_f64 v[24:25], s[12:13], v[34:35], v[166:167]
	v_fmac_f64_e32 v[166:167], s[8:9], v[34:35]
	v_add_f64 v[34:35], v[160:161], v[26:27]
	v_lshl_add_u32 v248, v14, 4, v98
	v_fmac_f64_e32 v[28:29], v[182:183], v[156:157]
	v_fmac_f64_e32 v[32:33], v[178:179], v[152:153]
	v_add_f64 v[176:177], v[34:35], v[30:31]
	v_add_f64 v[34:35], v[26:27], v[30:31]
	ds_write_b128 v248, v[0:3]
	ds_write_b128 v248, v[4:7] offset:1664
	ds_write_b128 v248, v[168:171] offset:3328
	v_mul_u32_u24_e32 v0, 0x138, v12
	v_fmac_f64_e32 v[160:161], -0.5, v[34:35]
	v_add_f64 v[34:35], v[28:29], -v[32:33]
	v_add_u32_sdwa v0, v0, v13 dst_sel:DWORD dst_unused:UNUSED_PAD src0_sel:DWORD src1_sel:BYTE_0
	v_add_f64 v[8:9], v[8:9], v[194:195]
	v_add_f64 v[10:11], v[10:11], v[196:197]
	v_fma_f64 v[180:181], s[8:9], v[34:35], v[160:161]
	v_fmac_f64_e32 v[160:161], s[12:13], v[34:35]
	v_add_f64 v[34:35], v[162:163], v[28:29]
	v_add_f64 v[28:29], v[28:29], v[32:33]
	v_lshl_add_u32 v237, v0, 4, v98
	v_fmac_f64_e32 v[162:163], -0.5, v[28:29]
	v_add_f64 v[26:27], v[26:27], -v[30:31]
	ds_write_b128 v237, v[8:11]
	ds_write_b128 v237, v[22:25] offset:1664
	ds_write_b128 v237, v[164:167] offset:3328
	v_add_co_u32_e64 v10, s[0:1], s16, v224
	v_add_f64 v[178:179], v[34:35], v[32:33]
	v_fma_f64 v[182:183], s[12:13], v[26:27], v[162:163]
	v_fmac_f64_e32 v[162:163], s[8:9], v[26:27]
	v_addc_co_u32_e64 v11, s[0:1], 0, v225, s[0:1]
	ds_write_b128 v249, v[176:179] offset:9984
	ds_write_b128 v249, v[180:183] offset:11648
	ds_write_b128 v249, v[160:163] offset:13312
	s_waitcnt lgkmcnt(0)
	s_barrier
	ds_read_b128 v[204:207], v239
	ds_read_b128 v[2:5], v239 offset:4992
	ds_read_b128 v[6:9], v239 offset:9984
	;; [unrolled: 1-line block ×11, first 2 shown]
	v_lshl_add_u64 v[0:1], v[224:225], 0, s[14:15]
	global_load_dwordx4 v[160:163], v[10:11], off offset:864
	global_load_dwordx4 v[164:167], v[0:1], off offset:16
	s_waitcnt vmcnt(1) lgkmcnt(10)
	v_mul_f64 v[0:1], v[4:5], v[162:163]
	v_fma_f64 v[0:1], v[2:3], v[160:161], -v[0:1]
	v_mul_f64 v[2:3], v[2:3], v[162:163]
	v_fmac_f64_e32 v[2:3], v[4:5], v[160:161]
	s_waitcnt vmcnt(0) lgkmcnt(9)
	v_mul_f64 v[4:5], v[8:9], v[166:167]
	v_fma_f64 v[4:5], v[6:7], v[164:165], -v[4:5]
	v_mul_f64 v[6:7], v[6:7], v[166:167]
	v_fmac_f64_e32 v[6:7], v[8:9], v[164:165]
	v_lshl_add_u64 v[8:9], s[10:11], 0, v[222:223]
	v_lshl_add_u64 v[10:11], v[8:9], 0, s[14:15]
	v_add_co_u32_e64 v8, s[0:1], s16, v8
	v_lshlrev_b32_e32 v222, 5, v218
	s_nop 0
	v_addc_co_u32_e64 v9, s[0:1], 0, v9, s[0:1]
	global_load_dwordx4 v[168:171], v[8:9], off offset:864
	global_load_dwordx4 v[172:175], v[10:11], off offset:16
	s_waitcnt vmcnt(1) lgkmcnt(7)
	v_mul_f64 v[8:9], v[18:19], v[170:171]
	v_fma_f64 v[8:9], v[16:17], v[168:169], -v[8:9]
	v_mul_f64 v[10:11], v[16:17], v[170:171]
	s_waitcnt vmcnt(0) lgkmcnt(6)
	v_mul_f64 v[16:17], v[22:23], v[174:175]
	v_fma_f64 v[224:225], v[20:21], v[172:173], -v[16:17]
	v_lshl_add_u64 v[16:17], s[10:11], 0, v[222:223]
	v_fmac_f64_e32 v[10:11], v[18:19], v[168:169]
	v_lshl_add_u64 v[18:19], v[16:17], 0, s[14:15]
	v_add_co_u32_e64 v16, s[0:1], s16, v16
	v_lshlrev_b32_e32 v222, 5, v216
	s_nop 0
	v_addc_co_u32_e64 v17, s[0:1], 0, v17, s[0:1]
	global_load_dwordx4 v[176:179], v[16:17], off offset:864
	global_load_dwordx4 v[180:183], v[18:19], off offset:16
	v_mul_f64 v[226:227], v[20:21], v[174:175]
	v_fmac_f64_e32 v[226:227], v[22:23], v[172:173]
	s_waitcnt vmcnt(1) lgkmcnt(4)
	v_mul_f64 v[16:17], v[190:191], v[178:179]
	v_fma_f64 v[218:219], v[188:189], v[176:177], -v[16:17]
	s_waitcnt vmcnt(0) lgkmcnt(3)
	v_mul_f64 v[16:17], v[186:187], v[182:183]
	v_fma_f64 v[230:231], v[184:185], v[180:181], -v[16:17]
	v_lshl_add_u64 v[16:17], s[10:11], 0, v[222:223]
	v_lshl_add_u64 v[18:19], v[16:17], 0, s[14:15]
	v_add_co_u32_e64 v16, s[0:1], s16, v16
	v_mul_f64 v[228:229], v[188:189], v[178:179]
	v_mul_f64 v[232:233], v[184:185], v[182:183]
	v_addc_co_u32_e64 v17, s[0:1], 0, v17, s[0:1]
	v_fmac_f64_e32 v[228:229], v[190:191], v[176:177]
	v_fmac_f64_e32 v[232:233], v[186:187], v[180:181]
	global_load_dwordx4 v[184:187], v[16:17], off offset:864
	global_load_dwordx4 v[188:191], v[18:19], off offset:16
	v_add_f64 v[18:19], v[0:1], v[4:5]
	v_add_f64 v[26:27], v[228:229], v[232:233]
	v_add_f64 v[36:37], v[218:219], -v[230:231]
	s_mov_b64 s[0:1], 0x3a80
	s_waitcnt vmcnt(1) lgkmcnt(1)
	v_mul_f64 v[16:17], v[214:215], v[186:187]
	v_fma_f64 v[28:29], v[212:213], v[184:185], -v[16:17]
	s_waitcnt vmcnt(0) lgkmcnt(0)
	v_mul_f64 v[16:17], v[210:211], v[190:191]
	v_fma_f64 v[32:33], v[208:209], v[188:189], -v[16:17]
	v_add_f64 v[16:17], v[204:205], v[0:1]
	v_fmac_f64_e32 v[204:205], -0.5, v[18:19]
	v_add_f64 v[18:19], v[2:3], -v[6:7]
	v_fma_f64 v[20:21], s[8:9], v[18:19], v[204:205]
	v_fmac_f64_e32 v[204:205], s[12:13], v[18:19]
	v_add_f64 v[18:19], v[206:207], v[2:3]
	v_add_f64 v[2:3], v[2:3], v[6:7]
	v_fmac_f64_e32 v[206:207], -0.5, v[2:3]
	v_add_f64 v[0:1], v[0:1], -v[4:5]
	v_add_f64 v[2:3], v[8:9], v[224:225]
	v_add_f64 v[18:19], v[18:19], v[6:7]
	v_fma_f64 v[22:23], s[12:13], v[0:1], v[206:207]
	v_fmac_f64_e32 v[206:207], s[8:9], v[0:1]
	v_add_f64 v[0:1], v[200:201], v[8:9]
	v_fmac_f64_e32 v[200:201], -0.5, v[2:3]
	v_add_f64 v[2:3], v[10:11], -v[226:227]
	v_add_f64 v[6:7], v[10:11], v[226:227]
	v_add_f64 v[16:17], v[16:17], v[4:5]
	v_fma_f64 v[4:5], s[8:9], v[2:3], v[200:201]
	v_fmac_f64_e32 v[200:201], s[12:13], v[2:3]
	v_add_f64 v[2:3], v[202:203], v[10:11]
	v_fmac_f64_e32 v[202:203], -0.5, v[6:7]
	v_add_f64 v[8:9], v[8:9], -v[224:225]
	v_add_f64 v[10:11], v[218:219], v[230:231]
	v_fma_f64 v[6:7], s[12:13], v[8:9], v[202:203]
	v_fmac_f64_e32 v[202:203], s[8:9], v[8:9]
	v_add_f64 v[8:9], v[196:197], v[218:219]
	v_fmac_f64_e32 v[196:197], -0.5, v[10:11]
	v_add_f64 v[10:11], v[228:229], -v[232:233]
	v_fma_f64 v[24:25], s[8:9], v[10:11], v[196:197]
	v_fmac_f64_e32 v[196:197], s[12:13], v[10:11]
	v_add_f64 v[10:11], v[198:199], v[228:229]
	v_fmac_f64_e32 v[198:199], -0.5, v[26:27]
	v_mul_f64 v[30:31], v[212:213], v[186:187]
	v_mul_f64 v[34:35], v[208:209], v[190:191]
	v_fma_f64 v[26:27], s[12:13], v[36:37], v[198:199]
	v_fmac_f64_e32 v[198:199], s[8:9], v[36:37]
	v_add_f64 v[36:37], v[192:193], v[28:29]
	v_fmac_f64_e32 v[30:31], v[214:215], v[184:185]
	v_fmac_f64_e32 v[34:35], v[210:211], v[188:189]
	v_add_f64 v[208:209], v[36:37], v[32:33]
	v_add_f64 v[36:37], v[28:29], v[32:33]
	v_fmac_f64_e32 v[192:193], -0.5, v[36:37]
	v_add_f64 v[36:37], v[30:31], -v[34:35]
	v_fma_f64 v[212:213], s[8:9], v[36:37], v[192:193]
	v_fmac_f64_e32 v[192:193], s[12:13], v[36:37]
	v_add_f64 v[36:37], v[194:195], v[30:31]
	v_add_f64 v[30:31], v[30:31], v[34:35]
	;; [unrolled: 1-line block ×3, first 2 shown]
	v_fmac_f64_e32 v[194:195], -0.5, v[30:31]
	v_add_f64 v[28:29], v[28:29], -v[32:33]
	v_add_f64 v[2:3], v[2:3], v[226:227]
	v_add_f64 v[8:9], v[8:9], v[230:231]
	;; [unrolled: 1-line block ×4, first 2 shown]
	v_fma_f64 v[214:215], s[12:13], v[28:29], v[194:195]
	v_fmac_f64_e32 v[194:195], s[8:9], v[28:29]
	ds_write_b128 v239, v[16:19]
	ds_write_b128 v239, v[20:23] offset:4992
	ds_write_b128 v99, v[204:207] offset:9984
	;; [unrolled: 1-line block ×11, first 2 shown]
	v_lshl_add_u64 v[0:1], v[220:221], 0, s[0:1]
	s_movk_i32 s0, 0x3000
	v_add_co_u32_e64 v6, s[0:1], s0, v220
	s_waitcnt lgkmcnt(0)
	s_nop 0
	v_addc_co_u32_e64 v7, s[0:1], 0, v221, s[0:1]
	s_barrier
	global_load_dwordx4 v[6:9], v[6:7], off offset:2688
	ds_read_b128 v[2:5], v239
	s_movk_i32 s0, 0x5000
	v_add_co_u32_e64 v192, s[0:1], s0, v220
	s_waitcnt vmcnt(0) lgkmcnt(0)
	v_mul_f64 v[10:11], v[4:5], v[8:9]
	v_mul_f64 v[18:19], v[2:3], v[8:9]
	v_addc_co_u32_e64 v193, s[0:1], 0, v221, s[0:1]
	v_fma_f64 v[16:17], v[2:3], v[6:7], -v[10:11]
	v_fmac_f64_e32 v[18:19], v[4:5], v[6:7]
	global_load_dwordx4 v[6:9], v[192:193], off offset:1984
	ds_read_b128 v[2:5], v239 offset:7488
	ds_write_b128 v239, v[16:19]
	s_movk_i32 s0, 0x6000
	v_add_co_u32_e64 v20, s[0:1], s0, v220
	s_waitcnt vmcnt(0) lgkmcnt(1)
	v_mul_f64 v[10:11], v[4:5], v[8:9]
	v_mul_f64 v[18:19], v[2:3], v[8:9]
	v_fma_f64 v[16:17], v[2:3], v[6:7], -v[10:11]
	v_fmac_f64_e32 v[18:19], v[4:5], v[6:7]
	global_load_dwordx4 v[6:9], v[0:1], off offset:1248
	ds_read_b128 v[2:5], v239 offset:1248
	ds_write_b128 v239, v[16:19] offset:7488
	v_addc_co_u32_e64 v21, s[0:1], 0, v221, s[0:1]
	s_movk_i32 s0, 0x4000
	s_waitcnt vmcnt(0) lgkmcnt(1)
	v_mul_f64 v[10:11], v[4:5], v[8:9]
	v_mul_f64 v[18:19], v[2:3], v[8:9]
	v_fma_f64 v[16:17], v[2:3], v[6:7], -v[10:11]
	v_fmac_f64_e32 v[18:19], v[4:5], v[6:7]
	global_load_dwordx4 v[6:9], v[192:193], off offset:3232
	ds_read_b128 v[2:5], v239 offset:8736
	ds_write_b128 v239, v[16:19] offset:1248
	s_waitcnt vmcnt(0) lgkmcnt(1)
	v_mul_f64 v[10:11], v[4:5], v[8:9]
	v_mul_f64 v[18:19], v[2:3], v[8:9]
	v_fma_f64 v[16:17], v[2:3], v[6:7], -v[10:11]
	v_fmac_f64_e32 v[18:19], v[4:5], v[6:7]
	global_load_dwordx4 v[6:9], v[0:1], off offset:2496
	ds_read_b128 v[2:5], v239 offset:2496
	ds_write_b128 v239, v[16:19] offset:8736
	;; [unrolled: 8-line block ×4, first 2 shown]
	s_waitcnt vmcnt(0) lgkmcnt(1)
	v_mul_f64 v[0:1], v[4:5], v[8:9]
	v_fma_f64 v[0:1], v[2:3], v[6:7], -v[0:1]
	v_mul_f64 v[2:3], v[2:3], v[8:9]
	v_fmac_f64_e32 v[2:3], v[4:5], v[6:7]
	global_load_dwordx4 v[4:7], v[20:21], off offset:1632
	ds_write_b128 v239, v[0:3] offset:3744
	ds_read_b128 v[0:3], v239 offset:11232
	s_waitcnt vmcnt(0) lgkmcnt(0)
	v_mul_f64 v[8:9], v[2:3], v[6:7]
	v_mul_f64 v[10:11], v[0:1], v[6:7]
	v_fma_f64 v[8:9], v[0:1], v[4:5], -v[8:9]
	v_fmac_f64_e32 v[10:11], v[2:3], v[4:5]
	v_add_co_u32_e64 v4, s[0:1], s0, v220
	ds_read_b128 v[0:3], v239 offset:4992
	s_nop 0
	v_addc_co_u32_e64 v5, s[0:1], 0, v221, s[0:1]
	global_load_dwordx4 v[4:7], v[4:5], off offset:3584
	ds_write_b128 v239, v[8:11] offset:11232
	s_movk_i32 s0, 0x7000
	s_waitcnt vmcnt(0) lgkmcnt(1)
	v_mul_f64 v[8:9], v[2:3], v[6:7]
	v_mul_f64 v[10:11], v[0:1], v[6:7]
	v_fma_f64 v[8:9], v[0:1], v[4:5], -v[8:9]
	v_fmac_f64_e32 v[10:11], v[2:3], v[4:5]
	global_load_dwordx4 v[4:7], v[20:21], off offset:2880
	ds_read_b128 v[0:3], v239 offset:12480
	ds_write_b128 v239, v[8:11] offset:4992
	s_waitcnt vmcnt(0) lgkmcnt(1)
	v_mul_f64 v[8:9], v[2:3], v[6:7]
	v_mul_f64 v[10:11], v[0:1], v[6:7]
	v_fma_f64 v[8:9], v[0:1], v[4:5], -v[8:9]
	v_fmac_f64_e32 v[10:11], v[2:3], v[4:5]
	global_load_dwordx4 v[4:7], v[192:193], off offset:736
	ds_read_b128 v[0:3], v239 offset:6240
	ds_read_b128 v[192:195], v239 offset:13728
	ds_write_b128 v239, v[8:11] offset:12480
	s_waitcnt vmcnt(0) lgkmcnt(2)
	v_mul_f64 v[8:9], v[2:3], v[6:7]
	v_fma_f64 v[8:9], v[0:1], v[4:5], -v[8:9]
	v_mul_f64 v[10:11], v[0:1], v[6:7]
	v_add_co_u32_e64 v0, s[0:1], s0, v220
	v_fmac_f64_e32 v[10:11], v[2:3], v[4:5]
	s_nop 0
	v_addc_co_u32_e64 v1, s[0:1], 0, v221, s[0:1]
	global_load_dwordx4 v[0:3], v[0:1], off offset:32
	ds_write_b128 v239, v[8:11] offset:6240
	s_waitcnt vmcnt(0) lgkmcnt(2)
	v_mul_f64 v[4:5], v[194:195], v[2:3]
	v_mul_f64 v[6:7], v[192:193], v[2:3]
	v_fma_f64 v[4:5], v[192:193], v[0:1], -v[4:5]
	v_fmac_f64_e32 v[6:7], v[194:195], v[0:1]
	ds_write_b128 v239, v[4:7] offset:13728
	s_waitcnt lgkmcnt(0)
	s_barrier
	ds_read_b128 v[0:3], v239
	ds_read_b128 v[4:7], v239 offset:7488
	ds_read_b128 v[8:11], v239 offset:1248
	;; [unrolled: 1-line block ×11, first 2 shown]
	s_waitcnt lgkmcnt(10)
	v_add_f64 v[4:5], v[0:1], -v[4:5]
	v_add_f64 v[6:7], v[2:3], -v[6:7]
	v_fma_f64 v[0:1], v[0:1], 2.0, -v[4:5]
	v_fma_f64 v[2:3], v[2:3], 2.0, -v[6:7]
	s_waitcnt lgkmcnt(8)
	v_add_f64 v[16:17], v[8:9], -v[16:17]
	v_add_f64 v[18:19], v[10:11], -v[18:19]
	v_fma_f64 v[8:9], v[8:9], 2.0, -v[16:17]
	v_fma_f64 v[10:11], v[10:11], 2.0, -v[18:19]
	s_waitcnt lgkmcnt(6)
	v_add_f64 v[24:25], v[20:21], -v[24:25]
	v_add_f64 v[26:27], v[22:23], -v[26:27]
	s_waitcnt lgkmcnt(0)
	s_barrier
	ds_write_b128 v47, v[0:3]
	ds_write_b128 v47, v[4:7] offset:16
	v_accvgpr_read_b32 v0, a56
	v_fma_f64 v[20:21], v[20:21], 2.0, -v[24:25]
	v_fma_f64 v[22:23], v[22:23], 2.0, -v[26:27]
	v_add_f64 v[196:197], v[192:193], -v[196:197]
	v_add_f64 v[198:199], v[194:195], -v[198:199]
	ds_write_b128 v0, v[8:11]
	ds_write_b128 v0, v[16:19] offset:16
	v_accvgpr_read_b32 v0, a57
	v_fma_f64 v[192:193], v[192:193], 2.0, -v[196:197]
	v_fma_f64 v[194:195], v[194:195], 2.0, -v[198:199]
	v_add_f64 v[204:205], v[200:201], -v[204:205]
	v_add_f64 v[206:207], v[202:203], -v[206:207]
	;; [unrolled: 7-line block ×3, first 2 shown]
	ds_write_b128 v0, v[192:195]
	ds_write_b128 v0, v[196:199] offset:16
	v_accvgpr_read_b32 v0, a59
	v_fma_f64 v[208:209], v[208:209], 2.0, -v[212:213]
	v_fma_f64 v[210:211], v[210:211], 2.0, -v[214:215]
	ds_write_b128 v0, v[200:203]
	ds_write_b128 v0, v[204:207] offset:16
	ds_write_b128 v217, v[208:211]
	ds_write_b128 v217, v[212:215] offset:16
	s_waitcnt lgkmcnt(0)
	s_barrier
	ds_read_b128 v[0:3], v239
	ds_read_b128 v[4:7], v239 offset:7488
	ds_read_b128 v[8:11], v239 offset:1248
	;; [unrolled: 1-line block ×11, first 2 shown]
	s_waitcnt lgkmcnt(10)
	v_mul_f64 v[28:29], v[58:59], v[6:7]
	v_fmac_f64_e32 v[28:29], v[56:57], v[4:5]
	v_mul_f64 v[4:5], v[58:59], v[4:5]
	v_fma_f64 v[4:5], v[56:57], v[6:7], -v[4:5]
	s_waitcnt lgkmcnt(8)
	v_mul_f64 v[6:7], v[58:59], v[18:19]
	v_fmac_f64_e32 v[6:7], v[56:57], v[16:17]
	v_mul_f64 v[16:17], v[58:59], v[16:17]
	v_fma_f64 v[16:17], v[56:57], v[18:19], -v[16:17]
	;; [unrolled: 5-line block ×3, first 2 shown]
	s_waitcnt lgkmcnt(4)
	v_mul_f64 v[26:27], v[58:59], v[194:195]
	v_mul_f64 v[30:31], v[58:59], v[192:193]
	v_fmac_f64_e32 v[26:27], v[56:57], v[192:193]
	v_fma_f64 v[30:31], v[56:57], v[194:195], -v[30:31]
	s_waitcnt lgkmcnt(2)
	v_mul_f64 v[32:33], v[58:59], v[198:199]
	v_mul_f64 v[34:35], v[58:59], v[196:197]
	s_waitcnt lgkmcnt(0)
	v_mul_f64 v[36:37], v[58:59], v[202:203]
	v_mul_f64 v[38:39], v[58:59], v[200:201]
	v_add_f64 v[192:193], v[0:1], -v[28:29]
	v_add_f64 v[194:195], v[2:3], -v[4:5]
	v_fmac_f64_e32 v[32:33], v[56:57], v[196:197]
	v_fma_f64 v[34:35], v[56:57], v[198:199], -v[34:35]
	v_fmac_f64_e32 v[36:37], v[56:57], v[200:201]
	v_fma_f64 v[38:39], v[56:57], v[202:203], -v[38:39]
	v_fma_f64 v[56:57], v[0:1], 2.0, -v[192:193]
	v_fma_f64 v[58:59], v[2:3], 2.0, -v[194:195]
	v_add_f64 v[200:201], v[8:9], -v[6:7]
	v_add_f64 v[202:203], v[10:11], -v[16:17]
	v_accvgpr_read_b32 v0, a60
	v_fma_f64 v[196:197], v[8:9], 2.0, -v[200:201]
	v_fma_f64 v[198:199], v[10:11], 2.0, -v[202:203]
	v_add_f64 v[208:209], v[20:21], -v[18:19]
	v_add_f64 v[210:211], v[22:23], -v[24:25]
	s_barrier
	ds_write_b128 v0, v[56:59]
	ds_write_b128 v0, v[192:195] offset:32
	v_accvgpr_read_b32 v0, a61
	v_fma_f64 v[204:205], v[20:21], 2.0, -v[208:209]
	v_fma_f64 v[206:207], v[22:23], 2.0, -v[210:211]
	v_add_f64 v[228:229], v[212:213], -v[26:27]
	v_add_f64 v[230:231], v[214:215], -v[30:31]
	ds_write_b128 v0, v[196:199]
	ds_write_b128 v0, v[200:203] offset:32
	v_accvgpr_read_b32 v0, a62
	v_fma_f64 v[224:225], v[212:213], 2.0, -v[228:229]
	v_fma_f64 v[226:227], v[214:215], 2.0, -v[230:231]
	v_add_f64 v[216:217], v[220:221], -v[32:33]
	v_add_f64 v[218:219], v[222:223], -v[34:35]
	;; [unrolled: 7-line block ×3, first 2 shown]
	ds_write_b128 v0, v[224:227]
	ds_write_b128 v0, v[228:231] offset:32
	v_accvgpr_read_b32 v0, a64
	v_fma_f64 v[220:221], v[240:241], 2.0, -v[212:213]
	v_fma_f64 v[222:223], v[242:243], 2.0, -v[214:215]
	ds_write_b128 v0, v[232:235]
	ds_write_b128 v0, v[216:219] offset:32
	v_accvgpr_read_b32 v0, a65
	ds_write_b128 v0, v[220:223]
	ds_write_b128 v0, v[212:215] offset:32
	s_waitcnt lgkmcnt(0)
	s_barrier
	s_and_saveexec_b64 s[0:1], vcc
	s_cbranch_execz .LBB0_7
; %bb.6:
	ds_read_b128 v[56:59], v239
	ds_read_b128 v[192:195], v239 offset:1152
	ds_read_b128 v[196:199], v239 offset:2304
	;; [unrolled: 1-line block ×12, first 2 shown]
.LBB0_7:
	s_or_b64 exec, exec, s[0:1]
	v_add_u32_e32 v241, 0x9c0, v239
	v_add_u32_e32 v240, 0xea0, v239
	s_waitcnt lgkmcnt(0)
	s_barrier
	s_and_saveexec_b64 s[0:1], vcc
	s_cbranch_execz .LBB0_9
; %bb.8:
	v_mul_f64 v[0:1], v[54:55], v[224:225]
	v_fma_f64 v[2:3], v[52:53], v[226:227], -v[0:1]
	v_mul_f64 v[0:1], v[90:91], v[228:229]
	v_accvgpr_write_b32 a56, v240
	v_accvgpr_write_b32 a57, v241
	v_mul_f64 v[240:241], v[54:55], v[226:227]
	v_fma_f64 v[0:1], v[88:89], v[230:231], -v[0:1]
	v_fmac_f64_e32 v[240:241], v[52:53], v[224:225]
	v_add_f64 v[224:225], v[2:3], v[0:1]
	v_mov_b64_e32 v[28:29], v[2:3]
	v_mul_f64 v[2:3], v[78:79], v[208:209]
	v_fma_f64 v[4:5], v[76:77], v[210:211], -v[2:3]
	v_mul_f64 v[2:3], v[82:83], v[232:233]
	v_mul_f64 v[242:243], v[90:91], v[230:231]
	;; [unrolled: 1-line block ×3, first 2 shown]
	v_fma_f64 v[2:3], v[80:81], v[234:235], -v[2:3]
	v_mul_f64 v[82:83], v[66:67], v[206:207]
	v_mul_f64 v[6:7], v[62:63], v[200:201]
	v_accvgpr_read_b32 v10, a52
	v_add_f64 v[226:227], v[4:5], v[2:3]
	v_mov_b64_e32 v[34:35], v[4:5]
	v_fmac_f64_e32 v[82:83], v[64:65], v[204:205]
	v_mul_f64 v[4:5], v[66:67], v[204:205]
	v_mul_f64 v[204:205], v[62:63], v[202:203]
	v_accvgpr_write_b32 a58, v96
	v_accvgpr_write_b32 a59, v97
	v_mul_f64 v[96:97], v[86:87], v[222:223]
	v_fma_f64 v[202:203], v[60:61], v[202:203], -v[6:7]
	v_mul_f64 v[6:7], v[86:87], v[220:221]
	v_accvgpr_read_b32 v12, a54
	v_accvgpr_read_b32 v13, a55
	v_fmac_f64_e32 v[242:243], v[88:89], v[228:229]
	v_mul_f64 v[88:89], v[78:79], v[210:211]
	v_fma_f64 v[206:207], v[64:65], v[206:207], -v[4:5]
	v_mul_f64 v[4:5], v[94:95], v[216:217]
	v_fmac_f64_e32 v[204:205], v[60:61], v[200:201]
	v_fmac_f64_e32 v[96:97], v[84:85], v[220:221]
	v_fma_f64 v[86:87], v[84:85], v[222:223], -v[6:7]
	v_accvgpr_read_b32 v11, a53
	v_mul_f64 v[200:201], v[12:13], v[198:199]
	v_mul_f64 v[84:85], v[74:75], v[214:215]
	;; [unrolled: 1-line block ×3, first 2 shown]
	v_fmac_f64_e32 v[88:89], v[76:77], v[208:209]
	v_fmac_f64_e32 v[90:91], v[80:81], v[232:233]
	v_mul_f64 v[80:81], v[94:95], v[218:219]
	v_fma_f64 v[208:209], v[92:93], v[218:219], -v[4:5]
	v_fmac_f64_e32 v[200:201], v[10:11], v[196:197]
	v_fmac_f64_e32 v[84:85], v[72:73], v[212:213]
	v_fma_f64 v[218:219], v[10:11], v[198:199], -v[8:9]
	v_mul_f64 v[8:9], v[74:75], v[212:213]
	v_mul_f64 v[212:213], v[50:51], v[194:195]
	;; [unrolled: 1-line block ×4, first 2 shown]
	v_fmac_f64_e32 v[212:213], v[48:49], v[192:193]
	v_fmac_f64_e32 v[196:197], v[68:69], v[120:121]
	s_mov_b32 s28, 0x4bc48dbf
	v_fma_f64 v[192:193], v[48:49], v[194:195], -v[10:11]
	v_mul_f64 v[10:11], v[70:71], v[120:121]
	v_add_f64 v[254:255], v[212:213], -v[196:197]
	s_mov_b32 s29, 0xbfcea1e5
	v_fma_f64 v[120:121], v[68:69], v[122:123], -v[10:11]
	s_mov_b32 s26, 0x93053d00
	s_mov_b32 s20, 0x24c2f84
	v_add_f64 v[222:223], v[200:201], -v[84:85]
	s_mov_b32 s25, 0x3fddbe06
	s_mov_b32 s24, 0x4267c47c
	v_fma_f64 v[198:199], v[72:73], v[214:215], -v[8:9]
	s_mov_b32 s18, 0xe00740e9
	v_mul_f64 v[26:27], v[254:255], s[28:29]
	v_add_f64 v[122:123], v[192:193], v[120:121]
	s_mov_b32 s27, 0xbfef11f4
	v_fmac_f64_e32 v[80:81], v[92:93], v[216:217]
	s_mov_b32 s34, 0x42a4c3d2
	v_add_f64 v[232:233], v[204:205], -v[96:97]
	s_mov_b32 s21, 0xbfe5384d
	s_mov_b32 s16, 0xd0032e0c
	v_mul_f64 v[24:25], v[222:223], s[24:25]
	v_add_f64 v[214:215], v[218:219], v[198:199]
	s_mov_b32 s19, 0x3fec55a7
	v_fma_f64 v[10:11], s[26:27], v[122:123], v[26:27]
	v_fma_f64 v[26:27], v[122:123], s[26:27], -v[26:27]
	s_mov_b32 s14, 0x2ef20147
	v_add_f64 v[230:231], v[82:83], -v[80:81]
	s_mov_b32 s35, 0x3fea55e2
	s_mov_b32 s12, 0x1ea71119
	v_mul_f64 v[22:23], v[232:233], s[20:21]
	v_add_f64 v[220:221], v[202:203], v[86:87]
	s_mov_b32 s17, 0xbfe7f3cc
	v_fma_f64 v[8:9], s[18:19], v[214:215], v[24:25]
	v_fma_f64 v[24:25], v[214:215], s[18:19], -v[24:25]
	v_add_f64 v[26:27], v[58:59], v[26:27]
	s_mov_b32 s22, 0x66966769
	v_add_f64 v[228:229], v[88:89], -v[90:91]
	s_mov_b32 s15, 0xbfedeba7
	s_mov_b32 s10, 0xb2365da1
	v_mul_f64 v[20:21], v[230:231], s[34:35]
	v_add_f64 v[216:217], v[206:207], v[208:209]
	s_mov_b32 s13, 0x3fe22d96
	v_fma_f64 v[6:7], s[16:17], v[220:221], v[22:23]
	v_add_f64 v[10:11], v[58:59], v[10:11]
	v_fma_f64 v[22:23], v[220:221], s[16:17], -v[22:23]
	v_add_f64 v[24:25], v[24:25], v[26:27]
	v_accvgpr_write_b32 a48, v244
	v_accvgpr_write_b32 a49, v245
	v_add_f64 v[244:245], v[240:241], -v[242:243]
	s_mov_b32 s23, 0x3fefc445
	s_mov_b32 s8, 0xebaa3ed8
	v_mul_f64 v[18:19], v[228:229], s[14:15]
	s_mov_b32 s11, 0xbfd6b1d8
	v_fma_f64 v[4:5], s[12:13], v[216:217], v[20:21]
	v_add_f64 v[8:9], v[8:9], v[10:11]
	v_add_f64 v[10:11], v[192:193], -v[120:121]
	v_fma_f64 v[20:21], v[216:217], s[12:13], -v[20:21]
	v_add_f64 v[22:23], v[22:23], v[24:25]
	v_mul_f64 v[16:17], v[244:245], s[22:23]
	s_mov_b32 s9, 0x3fbedb7d
	v_mov_b64_e32 v[32:33], v[2:3]
	v_fma_f64 v[2:3], s[10:11], v[226:227], v[18:19]
	v_add_f64 v[6:7], v[6:7], v[8:9]
	v_add_f64 v[8:9], v[218:219], -v[198:199]
	v_add_f64 v[252:253], v[212:213], v[196:197]
	v_mul_f64 v[52:53], v[10:11], s[28:29]
	v_fma_f64 v[18:19], v[226:227], s[10:11], -v[18:19]
	v_add_f64 v[20:21], v[20:21], v[22:23]
	v_mov_b64_e32 v[14:15], v[0:1]
	v_fma_f64 v[0:1], s[8:9], v[224:225], v[16:17]
	v_add_f64 v[4:5], v[4:5], v[6:7]
	v_add_f64 v[6:7], v[202:203], -v[86:87]
	v_add_f64 v[250:251], v[200:201], v[84:85]
	v_accvgpr_write_b32 a52, v44
	v_accvgpr_write_b32 a53, v45
	v_mul_f64 v[44:45], v[8:9], s[24:25]
	v_fma_f64 v[48:49], v[252:253], s[26:27], -v[52:53]
	v_fma_f64 v[16:17], v[224:225], s[8:9], -v[16:17]
	v_add_f64 v[18:19], v[18:19], v[20:21]
	v_fmac_f64_e32 v[52:53], s[26:27], v[252:253]
	v_add_f64 v[2:3], v[2:3], v[4:5]
	v_add_f64 v[4:5], v[206:207], -v[208:209]
	v_accvgpr_write_b32 a54, v248
	v_accvgpr_write_b32 a55, v249
	v_add_f64 v[248:249], v[204:205], v[96:97]
	v_mul_f64 v[40:41], v[6:7], s[20:21]
	v_fma_f64 v[46:47], v[250:251], s[18:19], -v[44:45]
	v_add_f64 v[48:49], v[56:57], v[48:49]
	v_add_f64 v[54:55], v[16:17], v[18:19]
	v_fmac_f64_e32 v[44:45], s[18:19], v[250:251]
	v_add_f64 v[16:17], v[56:57], v[52:53]
	v_add_f64 v[50:51], v[0:1], v[2:3]
	v_add_f64 v[2:3], v[34:35], -v[32:33]
	v_accvgpr_write_b32 a65, v33
	v_accvgpr_write_b32 a50, v246
	;; [unrolled: 1-line block ×3, first 2 shown]
	v_add_f64 v[246:247], v[82:83], v[80:81]
	v_mul_f64 v[36:37], v[4:5], s[34:35]
	v_fma_f64 v[42:43], v[248:249], s[16:17], -v[40:41]
	v_add_f64 v[46:47], v[46:47], v[48:49]
	v_fmac_f64_e32 v[40:41], s[16:17], v[248:249]
	v_add_f64 v[16:17], v[44:45], v[16:17]
	v_add_f64 v[0:1], v[28:29], -v[14:15]
	v_accvgpr_write_b32 a63, v29
	v_add_f64 v[234:235], v[88:89], v[90:91]
	v_accvgpr_write_b32 a67, v35
	v_accvgpr_write_b32 a64, v32
	v_mul_f64 v[32:33], v[2:3], s[14:15]
	v_fma_f64 v[38:39], v[246:247], s[12:13], -v[36:37]
	v_add_f64 v[42:43], v[42:43], v[46:47]
	v_fmac_f64_e32 v[36:37], s[12:13], v[246:247]
	v_add_f64 v[16:17], v[40:41], v[16:17]
	v_add_f64 v[194:195], v[240:241], v[242:243]
	v_accvgpr_write_b32 a62, v28
	v_mul_f64 v[28:29], v[0:1], s[22:23]
	v_accvgpr_write_b32 a66, v34
	v_fma_f64 v[34:35], v[234:235], s[10:11], -v[32:33]
	v_add_f64 v[38:39], v[38:39], v[42:43]
	v_fmac_f64_e32 v[32:33], s[10:11], v[234:235]
	v_add_f64 v[16:17], v[36:37], v[16:17]
	v_mul_f64 v[36:37], v[254:255], s[20:21]
	v_fma_f64 v[30:31], v[194:195], s[8:9], -v[28:29]
	v_add_f64 v[34:35], v[34:35], v[38:39]
	v_fmac_f64_e32 v[28:29], s[8:9], v[194:195]
	v_add_f64 v[16:17], v[32:33], v[16:17]
	s_mov_b32 s31, 0xbfea55e2
	s_mov_b32 s30, s34
	v_mul_f64 v[32:33], v[222:223], s[22:23]
	v_fma_f64 v[38:39], s[16:17], v[122:123], v[36:37]
	v_add_f64 v[48:49], v[30:31], v[34:35]
	v_add_f64 v[52:53], v[28:29], v[16:17]
	s_mov_b32 s41, 0x3fcea1e5
	s_mov_b32 s40, s28
	v_mul_f64 v[28:29], v[232:233], s[30:31]
	v_fma_f64 v[34:35], s[8:9], v[214:215], v[32:33]
	v_add_f64 v[38:39], v[58:59], v[38:39]
	v_mul_f64 v[64:65], v[10:11], s[20:21]
	v_mul_f64 v[24:25], v[230:231], s[40:41]
	v_fma_f64 v[30:31], s[12:13], v[220:221], v[28:29]
	v_add_f64 v[34:35], v[34:35], v[38:39]
	v_mul_f64 v[44:45], v[8:9], s[22:23]
	v_fma_f64 v[60:61], v[252:253], s[16:17], -v[64:65]
	v_mul_f64 v[20:21], v[228:229], s[24:25]
	v_fma_f64 v[26:27], s[26:27], v[216:217], v[24:25]
	v_add_f64 v[30:31], v[30:31], v[34:35]
	v_mul_f64 v[40:41], v[6:7], s[30:31]
	v_fma_f64 v[46:47], v[250:251], s[8:9], -v[44:45]
	v_add_f64 v[60:61], v[56:57], v[60:61]
	v_mul_f64 v[16:17], v[244:245], s[14:15]
	v_fma_f64 v[22:23], s[18:19], v[226:227], v[20:21]
	v_add_f64 v[26:27], v[26:27], v[30:31]
	v_mul_f64 v[34:35], v[4:5], s[40:41]
	v_fma_f64 v[42:43], v[248:249], s[12:13], -v[40:41]
	v_add_f64 v[46:47], v[46:47], v[60:61]
	v_fma_f64 v[18:19], s[10:11], v[224:225], v[16:17]
	v_add_f64 v[22:23], v[22:23], v[26:27]
	v_mul_f64 v[26:27], v[2:3], s[24:25]
	v_fma_f64 v[38:39], v[246:247], s[26:27], -v[34:35]
	v_add_f64 v[42:43], v[42:43], v[46:47]
	v_add_f64 v[62:63], v[18:19], v[22:23]
	v_mul_f64 v[18:19], v[0:1], s[14:15]
	v_fma_f64 v[30:31], v[234:235], s[18:19], -v[26:27]
	v_add_f64 v[38:39], v[38:39], v[42:43]
	v_fma_f64 v[22:23], v[194:195], s[10:11], -v[18:19]
	v_add_f64 v[30:31], v[30:31], v[38:39]
	v_add_f64 v[60:61], v[22:23], v[30:31]
	v_fma_f64 v[30:31], v[122:123], s[16:17], -v[36:37]
	v_fma_f64 v[22:23], v[216:217], s[26:27], -v[24:25]
	;; [unrolled: 1-line block ×4, first 2 shown]
	v_add_f64 v[30:31], v[58:59], v[30:31]
	v_add_f64 v[28:29], v[28:29], v[30:31]
	;; [unrolled: 1-line block ×3, first 2 shown]
	v_fma_f64 v[20:21], v[226:227], s[18:19], -v[20:21]
	v_add_f64 v[22:23], v[22:23], v[24:25]
	v_fma_f64 v[16:17], v[224:225], s[10:11], -v[16:17]
	v_add_f64 v[20:21], v[20:21], v[22:23]
	v_fmac_f64_e32 v[64:65], s[16:17], v[252:253]
	v_add_f64 v[66:67], v[16:17], v[20:21]
	v_fmac_f64_e32 v[44:45], s[8:9], v[250:251]
	;; [unrolled: 2-line block ×3, first 2 shown]
	v_add_f64 v[16:17], v[44:45], v[16:17]
	s_mov_b32 s39, 0x3fe5384d
	s_mov_b32 s38, s20
	v_mul_f64 v[36:37], v[254:255], s[14:15]
	v_fmac_f64_e32 v[34:35], s[26:27], v[246:247]
	v_add_f64 v[16:17], v[40:41], v[16:17]
	v_mul_f64 v[32:33], v[222:223], s[38:39]
	v_fma_f64 v[38:39], s[10:11], v[122:123], v[36:37]
	v_add_f64 v[16:17], v[34:35], v[16:17]
	s_mov_b32 s37, 0xbfefc445
	s_mov_b32 s36, s22
	v_mul_f64 v[28:29], v[232:233], s[24:25]
	v_fma_f64 v[34:35], s[16:17], v[214:215], v[32:33]
	v_add_f64 v[38:39], v[58:59], v[38:39]
	v_mul_f64 v[72:73], v[10:11], s[14:15]
	v_fmac_f64_e32 v[26:27], s[18:19], v[234:235]
	v_mul_f64 v[24:25], v[230:231], s[36:37]
	v_fma_f64 v[30:31], s[18:19], v[220:221], v[28:29]
	v_add_f64 v[34:35], v[34:35], v[38:39]
	v_mul_f64 v[44:45], v[8:9], s[38:39]
	v_fma_f64 v[68:69], v[252:253], s[10:11], -v[72:73]
	v_fmac_f64_e32 v[18:19], s[10:11], v[194:195]
	v_add_f64 v[16:17], v[26:27], v[16:17]
	v_mul_f64 v[20:21], v[228:229], s[40:41]
	v_fma_f64 v[26:27], s[8:9], v[216:217], v[24:25]
	v_add_f64 v[30:31], v[30:31], v[34:35]
	v_mul_f64 v[40:41], v[6:7], s[24:25]
	v_fma_f64 v[46:47], v[250:251], s[16:17], -v[44:45]
	v_add_f64 v[68:69], v[56:57], v[68:69]
	v_add_f64 v[64:65], v[18:19], v[16:17]
	v_mul_f64 v[16:17], v[244:245], s[34:35]
	v_fma_f64 v[22:23], s[26:27], v[226:227], v[20:21]
	v_add_f64 v[26:27], v[26:27], v[30:31]
	v_mul_f64 v[34:35], v[4:5], s[36:37]
	v_fma_f64 v[42:43], v[248:249], s[18:19], -v[40:41]
	v_add_f64 v[46:47], v[46:47], v[68:69]
	v_fma_f64 v[18:19], s[12:13], v[224:225], v[16:17]
	v_add_f64 v[22:23], v[22:23], v[26:27]
	v_mul_f64 v[26:27], v[2:3], s[40:41]
	v_fma_f64 v[38:39], v[246:247], s[8:9], -v[34:35]
	v_add_f64 v[42:43], v[42:43], v[46:47]
	v_add_f64 v[70:71], v[18:19], v[22:23]
	v_mul_f64 v[18:19], v[0:1], s[34:35]
	v_fma_f64 v[30:31], v[234:235], s[26:27], -v[26:27]
	v_add_f64 v[38:39], v[38:39], v[42:43]
	v_fma_f64 v[22:23], v[194:195], s[12:13], -v[18:19]
	v_add_f64 v[30:31], v[30:31], v[38:39]
	v_add_f64 v[68:69], v[22:23], v[30:31]
	v_fma_f64 v[30:31], v[122:123], s[10:11], -v[36:37]
	v_fma_f64 v[22:23], v[216:217], s[8:9], -v[24:25]
	;; [unrolled: 1-line block ×4, first 2 shown]
	v_add_f64 v[30:31], v[58:59], v[30:31]
	v_add_f64 v[28:29], v[28:29], v[30:31]
	;; [unrolled: 1-line block ×3, first 2 shown]
	v_fma_f64 v[20:21], v[226:227], s[26:27], -v[20:21]
	v_add_f64 v[22:23], v[22:23], v[24:25]
	v_fma_f64 v[16:17], v[224:225], s[12:13], -v[16:17]
	v_add_f64 v[20:21], v[20:21], v[22:23]
	v_fmac_f64_e32 v[72:73], s[10:11], v[252:253]
	v_add_f64 v[74:75], v[16:17], v[20:21]
	v_fmac_f64_e32 v[44:45], s[16:17], v[250:251]
	;; [unrolled: 2-line block ×3, first 2 shown]
	v_add_f64 v[16:17], v[44:45], v[16:17]
	v_mul_f64 v[36:37], v[254:255], s[36:37]
	v_accvgpr_write_b32 a61, v15
	v_fmac_f64_e32 v[34:35], s[8:9], v[246:247]
	v_add_f64 v[16:17], v[40:41], v[16:17]
	s_mov_b32 s35, 0x3fedeba7
	s_mov_b32 s34, s14
	v_mul_f64 v[32:33], v[222:223], s[28:29]
	v_fma_f64 v[38:39], s[8:9], v[122:123], v[36:37]
	v_accvgpr_write_b32 a60, v14
	v_add_f64 v[16:17], v[34:35], v[16:17]
	v_mul_f64 v[28:29], v[232:233], s[34:35]
	v_fma_f64 v[34:35], s[26:27], v[214:215], v[32:33]
	v_add_f64 v[38:39], v[58:59], v[38:39]
	v_mul_f64 v[14:15], v[10:11], s[36:37]
	v_fmac_f64_e32 v[26:27], s[26:27], v[234:235]
	v_mul_f64 v[24:25], v[230:231], s[24:25]
	v_fma_f64 v[30:31], s[10:11], v[220:221], v[28:29]
	v_add_f64 v[34:35], v[34:35], v[38:39]
	v_mul_f64 v[44:45], v[8:9], s[28:29]
	v_fma_f64 v[76:77], v[252:253], s[8:9], -v[14:15]
	v_fmac_f64_e32 v[18:19], s[12:13], v[194:195]
	v_add_f64 v[16:17], v[26:27], v[16:17]
	v_mul_f64 v[20:21], v[228:229], s[30:31]
	v_fma_f64 v[26:27], s[18:19], v[216:217], v[24:25]
	v_add_f64 v[30:31], v[30:31], v[34:35]
	v_mul_f64 v[40:41], v[6:7], s[34:35]
	v_fma_f64 v[46:47], v[250:251], s[26:27], -v[44:45]
	v_add_f64 v[76:77], v[56:57], v[76:77]
	v_add_f64 v[72:73], v[18:19], v[16:17]
	v_mul_f64 v[16:17], v[244:245], s[20:21]
	v_fma_f64 v[22:23], s[12:13], v[226:227], v[20:21]
	v_add_f64 v[26:27], v[26:27], v[30:31]
	v_mul_f64 v[34:35], v[4:5], s[24:25]
	v_fma_f64 v[42:43], v[248:249], s[10:11], -v[40:41]
	v_add_f64 v[46:47], v[46:47], v[76:77]
	v_fma_f64 v[18:19], s[16:17], v[224:225], v[16:17]
	v_add_f64 v[22:23], v[22:23], v[26:27]
	v_mul_f64 v[26:27], v[2:3], s[30:31]
	v_fma_f64 v[38:39], v[246:247], s[18:19], -v[34:35]
	v_add_f64 v[42:43], v[42:43], v[46:47]
	v_add_f64 v[78:79], v[18:19], v[22:23]
	v_mul_f64 v[22:23], v[0:1], s[20:21]
	v_fma_f64 v[30:31], v[234:235], s[12:13], -v[26:27]
	v_add_f64 v[38:39], v[38:39], v[42:43]
	v_fmac_f64_e32 v[14:15], s[8:9], v[252:253]
	v_fma_f64 v[18:19], v[194:195], s[16:17], -v[22:23]
	v_add_f64 v[30:31], v[30:31], v[38:39]
	v_fmac_f64_e32 v[44:45], s[26:27], v[250:251]
	v_add_f64 v[14:15], v[56:57], v[14:15]
	v_add_f64 v[76:77], v[18:19], v[30:31]
	v_fma_f64 v[30:31], v[122:123], s[8:9], -v[36:37]
	v_fmac_f64_e32 v[40:41], s[10:11], v[248:249]
	v_add_f64 v[14:15], v[44:45], v[14:15]
	v_fma_f64 v[18:19], v[226:227], s[12:13], -v[20:21]
	v_fma_f64 v[20:21], v[216:217], s[18:19], -v[24:25]
	;; [unrolled: 1-line block ×4, first 2 shown]
	v_add_f64 v[30:31], v[58:59], v[30:31]
	v_fmac_f64_e32 v[34:35], s[18:19], v[246:247]
	v_add_f64 v[14:15], v[40:41], v[14:15]
	v_mul_f64 v[38:39], v[254:255], s[30:31]
	v_add_f64 v[28:29], v[28:29], v[30:31]
	v_add_f64 v[14:15], v[34:35], v[14:15]
	v_mul_f64 v[34:35], v[222:223], s[14:15]
	v_fma_f64 v[40:41], s[12:13], v[122:123], v[38:39]
	v_mul_f64 v[94:95], v[10:11], s[30:31]
	v_add_f64 v[24:25], v[24:25], v[28:29]
	v_fmac_f64_e32 v[26:27], s[12:13], v[234:235]
	v_mul_f64 v[30:31], v[232:233], s[28:29]
	v_fma_f64 v[36:37], s[10:11], v[214:215], v[34:35]
	v_add_f64 v[40:41], v[58:59], v[40:41]
	v_mul_f64 v[12:13], v[8:9], s[14:15]
	v_fma_f64 v[210:211], v[252:253], s[12:13], -v[94:95]
	v_add_f64 v[20:21], v[20:21], v[24:25]
	v_add_f64 v[14:15], v[26:27], v[14:15]
	v_mul_f64 v[26:27], v[230:231], s[38:39]
	v_fma_f64 v[32:33], s[26:27], v[220:221], v[30:31]
	v_add_f64 v[36:37], v[36:37], v[40:41]
	v_mul_f64 v[44:45], v[6:7], s[28:29]
	v_fma_f64 v[92:93], v[250:251], s[10:11], -v[12:13]
	v_add_f64 v[210:211], v[56:57], v[210:211]
	v_fma_f64 v[16:17], v[224:225], s[16:17], -v[16:17]
	v_add_f64 v[18:19], v[18:19], v[20:21]
	v_fmac_f64_e32 v[22:23], s[16:17], v[194:195]
	v_mul_f64 v[24:25], v[228:229], s[22:23]
	v_fma_f64 v[28:29], s[16:17], v[216:217], v[26:27]
	v_add_f64 v[32:33], v[32:33], v[36:37]
	v_mul_f64 v[40:41], v[4:5], s[38:39]
	v_fma_f64 v[46:47], v[248:249], s[26:27], -v[44:45]
	v_add_f64 v[92:93], v[92:93], v[210:211]
	v_add_f64 v[18:19], v[16:17], v[18:19]
	;; [unrolled: 1-line block ×3, first 2 shown]
	v_mul_f64 v[14:15], v[244:245], s[24:25]
	v_fma_f64 v[22:23], s[8:9], v[226:227], v[24:25]
	v_add_f64 v[28:29], v[28:29], v[32:33]
	v_mul_f64 v[32:33], v[2:3], s[22:23]
	v_fma_f64 v[42:43], v[246:247], s[16:17], -v[40:41]
	v_add_f64 v[46:47], v[46:47], v[92:93]
	v_fma_f64 v[20:21], s[18:19], v[224:225], v[14:15]
	v_add_f64 v[22:23], v[22:23], v[28:29]
	v_mul_f64 v[28:29], v[0:1], s[24:25]
	v_fma_f64 v[36:37], v[234:235], s[8:9], -v[32:33]
	v_add_f64 v[42:43], v[42:43], v[46:47]
	v_add_f64 v[22:23], v[20:21], v[22:23]
	v_fma_f64 v[20:21], v[194:195], s[18:19], -v[28:29]
	v_add_f64 v[36:37], v[36:37], v[42:43]
	v_add_f64 v[20:21], v[20:21], v[36:37]
	v_fma_f64 v[36:37], v[122:123], s[12:13], -v[38:39]
	v_fma_f64 v[34:35], v[214:215], s[10:11], -v[34:35]
	v_add_f64 v[36:37], v[58:59], v[36:37]
	v_fma_f64 v[30:31], v[220:221], s[26:27], -v[30:31]
	v_add_f64 v[34:35], v[34:35], v[36:37]
	;; [unrolled: 2-line block ×5, first 2 shown]
	v_fmac_f64_e32 v[94:95], s[12:13], v[252:253]
	v_add_f64 v[26:27], v[14:15], v[24:25]
	v_fmac_f64_e32 v[12:13], s[10:11], v[250:251]
	v_add_f64 v[14:15], v[56:57], v[94:95]
	v_fmac_f64_e32 v[44:45], s[26:27], v[248:249]
	v_add_f64 v[12:13], v[12:13], v[14:15]
	s_mov_b32 s25, 0xbfddbe06
	v_fmac_f64_e32 v[40:41], s[16:17], v[246:247]
	v_add_f64 v[12:13], v[44:45], v[12:13]
	v_mul_f64 v[44:45], v[254:255], s[24:25]
	v_add_f64 v[12:13], v[40:41], v[12:13]
	v_mul_f64 v[40:41], v[222:223], s[30:31]
	v_fma_f64 v[46:47], s[18:19], v[122:123], v[44:45]
	v_fmac_f64_e32 v[32:33], s[8:9], v[234:235]
	v_mul_f64 v[36:37], v[232:233], s[36:37]
	v_fma_f64 v[42:43], s[12:13], v[214:215], v[40:41]
	v_add_f64 v[46:47], v[58:59], v[46:47]
	v_fmac_f64_e32 v[28:29], s[18:19], v[194:195]
	v_add_f64 v[12:13], v[32:33], v[12:13]
	v_mul_f64 v[32:33], v[230:231], s[14:15]
	v_fma_f64 v[38:39], s[8:9], v[220:221], v[36:37]
	v_add_f64 v[42:43], v[42:43], v[46:47]
	v_mul_f64 v[10:11], v[10:11], s[24:25]
	v_add_f64 v[24:25], v[28:29], v[12:13]
	v_mul_f64 v[28:29], v[228:229], s[20:21]
	v_fma_f64 v[34:35], s[10:11], v[216:217], v[32:33]
	v_add_f64 v[38:39], v[38:39], v[42:43]
	v_mul_f64 v[8:9], v[8:9], s[30:31]
	v_fma_f64 v[46:47], v[252:253], s[18:19], -v[10:11]
	v_fmac_f64_e32 v[10:11], s[18:19], v[252:253]
	v_mul_f64 v[12:13], v[244:245], s[28:29]
	v_fma_f64 v[30:31], s[16:17], v[226:227], v[28:29]
	v_add_f64 v[34:35], v[34:35], v[38:39]
	v_mul_f64 v[6:7], v[6:7], s[36:37]
	v_fma_f64 v[42:43], v[250:251], s[12:13], -v[8:9]
	v_fmac_f64_e32 v[8:9], s[12:13], v[250:251]
	v_add_f64 v[10:11], v[56:57], v[10:11]
	v_fma_f64 v[14:15], s[26:27], v[224:225], v[12:13]
	v_add_f64 v[30:31], v[30:31], v[34:35]
	v_mul_f64 v[4:5], v[4:5], s[14:15]
	v_fma_f64 v[38:39], v[248:249], s[8:9], -v[6:7]
	v_fmac_f64_e32 v[6:7], s[8:9], v[248:249]
	v_add_f64 v[8:9], v[8:9], v[10:11]
	v_add_f64 v[230:231], v[14:15], v[30:31]
	v_mul_f64 v[30:31], v[2:3], s[20:21]
	v_fma_f64 v[34:35], v[246:247], s[10:11], -v[4:5]
	v_fmac_f64_e32 v[4:5], s[10:11], v[246:247]
	v_add_f64 v[6:7], v[6:7], v[8:9]
	v_mul_f64 v[0:1], v[0:1], s[28:29]
	v_fma_f64 v[2:3], v[234:235], s[16:17], -v[30:31]
	v_fmac_f64_e32 v[30:31], s[16:17], v[234:235]
	v_add_f64 v[4:5], v[4:5], v[6:7]
	v_fma_f64 v[14:15], v[194:195], s[26:27], -v[0:1]
	v_fmac_f64_e32 v[0:1], s[26:27], v[194:195]
	v_add_f64 v[4:5], v[30:31], v[4:5]
	v_add_f64 v[0:1], v[0:1], v[4:5]
	v_add_f64 v[4:5], v[58:59], v[192:193]
	v_add_f64 v[4:5], v[4:5], v[218:219]
	v_add_f64 v[4:5], v[4:5], v[202:203]
	v_accvgpr_read_b32 v6, a66
	v_add_f64 v[4:5], v[4:5], v[206:207]
	v_accvgpr_read_b32 v7, a67
	v_add_f64 v[4:5], v[4:5], v[6:7]
	v_accvgpr_read_b32 v6, a62
	v_accvgpr_read_b32 v7, a63
	v_add_f64 v[4:5], v[4:5], v[6:7]
	v_accvgpr_read_b32 v6, a60
	;; [unrolled: 3-line block ×3, first 2 shown]
	v_accvgpr_read_b32 v7, a65
	v_add_f64 v[4:5], v[4:5], v[6:7]
	v_add_f64 v[4:5], v[4:5], v[208:209]
	;; [unrolled: 1-line block ×16, first 2 shown]
	v_fma_f64 v[34:35], v[122:123], s[18:19], -v[44:45]
	v_add_f64 v[4:5], v[4:5], v[242:243]
	v_add_f64 v[228:229], v[14:15], v[2:3]
	v_fma_f64 v[14:15], v[216:217], s[10:11], -v[32:33]
	v_fma_f64 v[32:33], v[214:215], s[12:13], -v[40:41]
	v_add_f64 v[34:35], v[58:59], v[34:35]
	v_add_f64 v[4:5], v[4:5], v[90:91]
	v_fma_f64 v[2:3], v[224:225], s[26:27], -v[12:13]
	v_fma_f64 v[12:13], v[226:227], s[16:17], -v[28:29]
	;; [unrolled: 1-line block ×3, first 2 shown]
	v_add_f64 v[32:33], v[32:33], v[34:35]
	v_add_f64 v[4:5], v[4:5], v[80:81]
	v_accvgpr_read_b32 v8, a59
	v_add_f64 v[28:29], v[28:29], v[32:33]
	v_add_f64 v[4:5], v[4:5], v[96:97]
	v_mul_u32_u24_e32 v8, 52, v8
	v_accvgpr_read_b32 v9, a58
	v_add_f64 v[14:15], v[14:15], v[28:29]
	v_add_f64 v[4:5], v[4:5], v[84:85]
	v_or_b32_e32 v8, v8, v9
	v_accvgpr_read_b32 v245, a49
	v_accvgpr_read_b32 v244, a48
	;; [unrolled: 1-line block ×4, first 2 shown]
	v_add_f64 v[12:13], v[12:13], v[14:15]
	v_accvgpr_read_b32 v247, a51
	v_accvgpr_read_b32 v246, a50
	;; [unrolled: 1-line block ×6, first 2 shown]
	v_add_f64 v[4:5], v[4:5], v[196:197]
	v_lshl_add_u32 v8, v8, 4, v98
	v_add_f64 v[2:3], v[2:3], v[12:13]
	ds_write_b128 v8, v[4:7]
	ds_write_b128 v8, v[0:3] offset:64
	ds_write_b128 v8, v[24:27] offset:128
	;; [unrolled: 1-line block ×12, first 2 shown]
.LBB0_9:
	s_or_b64 exec, exec, s[0:1]
	s_waitcnt lgkmcnt(0)
	s_barrier
	ds_read_b128 v[0:3], v239
	ds_read_b128 v[4:7], v239 offset:1248
	ds_read_b128 v[8:11], v239 offset:7488
	ds_read_b128 v[16:19], v239 offset:8736
	ds_read_b128 v[20:23], v239 offset:2496
	ds_read_b128 v[24:27], v239 offset:3744
	ds_read_b128 v[48:51], v239 offset:9984
	ds_read_b128 v[52:55], v239 offset:11232
	ds_read_b128 v[56:59], v239 offset:4992
	ds_read_b128 v[60:63], v239 offset:6240
	ds_read_b128 v[70:73], v239 offset:12480
	ds_read_b128 v[74:77], v239 offset:13728
	s_waitcnt lgkmcnt(9)
	v_mul_f64 v[12:13], v[102:103], v[10:11]
	v_fmac_f64_e32 v[12:13], v[100:101], v[8:9]
	v_mul_f64 v[8:9], v[102:103], v[8:9]
	v_fma_f64 v[10:11], v[100:101], v[10:11], -v[8:9]
	s_waitcnt lgkmcnt(8)
	v_mul_f64 v[8:9], v[106:107], v[16:17]
	v_mul_f64 v[14:15], v[106:107], v[18:19]
	v_fma_f64 v[18:19], v[104:105], v[18:19], -v[8:9]
	s_waitcnt lgkmcnt(5)
	v_mul_f64 v[8:9], v[110:111], v[48:49]
	v_fma_f64 v[30:31], v[108:109], v[50:51], -v[8:9]
	s_waitcnt lgkmcnt(4)
	;; [unrolled: 3-line block ×3, first 2 shown]
	v_mul_f64 v[8:9], v[118:119], v[70:71]
	v_mul_f64 v[28:29], v[110:111], v[50:51]
	;; [unrolled: 1-line block ×4, first 2 shown]
	v_fma_f64 v[38:39], v[116:117], v[72:73], -v[8:9]
	s_waitcnt lgkmcnt(0)
	v_mul_f64 v[40:41], v[126:127], v[76:77]
	v_mul_f64 v[8:9], v[126:127], v[74:75]
	v_fmac_f64_e32 v[14:15], v[104:105], v[16:17]
	v_fmac_f64_e32 v[28:29], v[108:109], v[48:49]
	;; [unrolled: 1-line block ×5, first 2 shown]
	v_fma_f64 v[42:43], v[124:125], v[76:77], -v[8:9]
	v_add_f64 v[8:9], v[0:1], -v[12:13]
	v_add_f64 v[10:11], v[2:3], -v[10:11]
	;; [unrolled: 1-line block ×12, first 2 shown]
	v_fma_f64 v[0:1], v[0:1], 2.0, -v[8:9]
	v_fma_f64 v[2:3], v[2:3], 2.0, -v[10:11]
	;; [unrolled: 1-line block ×12, first 2 shown]
	s_barrier
	ds_write_b128 v244, v[0:3]
	ds_write_b128 v244, v[8:11] offset:832
	ds_write_b128 v245, v[4:7]
	ds_write_b128 v245, v[16:19] offset:832
	;; [unrolled: 2-line block ×6, first 2 shown]
	s_waitcnt lgkmcnt(0)
	s_barrier
	ds_read_b128 v[48:51], v239
	ds_read_b128 v[52:55], v239 offset:1248
	ds_read_b128 v[0:3], v239 offset:4992
	ds_read_b128 v[4:7], v239 offset:6240
	ds_read_b128 v[8:11], v239 offset:9984
	ds_read_b128 v[16:19], v239 offset:11232
	ds_read_b128 v[56:59], v239 offset:2496
	ds_read_b128 v[60:63], v239 offset:3744
	ds_read_b128 v[20:23], v239 offset:7488
	ds_read_b128 v[24:27], v239 offset:8736
	ds_read_b128 v[70:73], v239 offset:12480
	ds_read_b128 v[74:77], v239 offset:13728
	s_waitcnt lgkmcnt(9)
	v_mul_f64 v[12:13], v[134:135], v[2:3]
	v_fmac_f64_e32 v[12:13], v[132:133], v[0:1]
	v_mul_f64 v[0:1], v[134:135], v[0:1]
	v_fma_f64 v[14:15], v[132:133], v[2:3], -v[0:1]
	s_waitcnt lgkmcnt(7)
	v_mul_f64 v[28:29], v[130:131], v[10:11]
	v_mul_f64 v[0:1], v[130:131], v[8:9]
	v_fmac_f64_e32 v[28:29], v[128:129], v[8:9]
	v_fma_f64 v[8:9], v[128:129], v[10:11], -v[0:1]
	v_mul_f64 v[0:1], v[142:143], v[4:5]
	v_fma_f64 v[32:33], v[140:141], v[6:7], -v[0:1]
	s_waitcnt lgkmcnt(6)
	v_mul_f64 v[0:1], v[138:139], v[16:17]
	v_mul_f64 v[34:35], v[138:139], v[18:19]
	v_fma_f64 v[18:19], v[136:137], v[18:19], -v[0:1]
	s_waitcnt lgkmcnt(3)
	v_mul_f64 v[0:1], v[150:151], v[20:21]
	v_fma_f64 v[38:39], v[148:149], v[22:23], -v[0:1]
	s_waitcnt lgkmcnt(1)
	v_mul_f64 v[0:1], v[146:147], v[70:71]
	v_mad_u64_u32 v[66:67], s[0:1], s6, v238, 0
	v_fma_f64 v[42:43], v[144:145], v[72:73], -v[0:1]
	v_mul_f64 v[0:1], v[158:159], v[24:25]
	v_fma_f64 v[46:47], v[156:157], v[26:27], -v[0:1]
	s_waitcnt lgkmcnt(0)
	v_mul_f64 v[0:1], v[154:155], v[74:75]
	v_add_f64 v[2:3], v[12:13], v[28:29]
	s_mov_b32 s0, 0xe8584caa
	v_mov_b32_e32 v64, s2
	v_mov_b32_e32 v65, s3
	v_mul_f64 v[30:31], v[142:143], v[6:7]
	v_mul_f64 v[78:79], v[154:155], v[76:77]
	v_fma_f64 v[76:77], v[152:153], v[76:77], -v[0:1]
	v_add_f64 v[0:1], v[48:49], v[12:13]
	v_fmac_f64_e32 v[48:49], -0.5, v[2:3]
	v_add_f64 v[2:3], v[14:15], -v[8:9]
	s_mov_b32 s1, 0xbfebb67a
	s_mov_b32 s3, 0x3febb67a
	;; [unrolled: 1-line block ×3, first 2 shown]
	v_fmac_f64_e32 v[30:31], v[140:141], v[4:5]
	v_fmac_f64_e32 v[34:35], v[136:137], v[16:17]
	v_fma_f64 v[4:5], s[0:1], v[2:3], v[48:49]
	v_fmac_f64_e32 v[48:49], s[2:3], v[2:3]
	v_add_f64 v[2:3], v[50:51], v[14:15]
	v_add_f64 v[6:7], v[14:15], v[8:9]
	;; [unrolled: 1-line block ×3, first 2 shown]
	v_fmac_f64_e32 v[50:51], -0.5, v[6:7]
	v_add_f64 v[8:9], v[12:13], -v[28:29]
	v_add_f64 v[10:11], v[30:31], v[34:35]
	v_mul_f64 v[36:37], v[150:151], v[22:23]
	v_fma_f64 v[6:7], s[2:3], v[8:9], v[50:51]
	v_fmac_f64_e32 v[50:51], s[0:1], v[8:9]
	v_add_f64 v[8:9], v[52:53], v[30:31]
	v_fmac_f64_e32 v[52:53], -0.5, v[10:11]
	v_add_f64 v[10:11], v[32:33], -v[18:19]
	v_add_f64 v[12:13], v[32:33], v[18:19]
	v_fmac_f64_e32 v[36:37], v[148:149], v[20:21]
	v_mul_f64 v[40:41], v[146:147], v[72:73]
	v_fma_f64 v[16:17], s[0:1], v[10:11], v[52:53]
	v_fmac_f64_e32 v[52:53], s[2:3], v[10:11]
	v_add_f64 v[10:11], v[54:55], v[32:33]
	v_fmac_f64_e32 v[54:55], -0.5, v[12:13]
	v_add_f64 v[12:13], v[30:31], -v[34:35]
	v_fmac_f64_e32 v[40:41], v[144:145], v[70:71]
	v_add_f64 v[10:11], v[10:11], v[18:19]
	v_fma_f64 v[18:19], s[2:3], v[12:13], v[54:55]
	v_fmac_f64_e32 v[54:55], s[0:1], v[12:13]
	v_add_f64 v[12:13], v[56:57], v[36:37]
	v_add_f64 v[20:21], v[12:13], v[40:41]
	;; [unrolled: 1-line block ×3, first 2 shown]
	v_mul_f64 v[44:45], v[158:159], v[26:27]
	v_fmac_f64_e32 v[56:57], -0.5, v[12:13]
	v_add_f64 v[12:13], v[38:39], -v[42:43]
	v_fmac_f64_e32 v[44:45], v[156:157], v[24:25]
	v_fma_f64 v[24:25], s[0:1], v[12:13], v[56:57]
	v_fmac_f64_e32 v[56:57], s[2:3], v[12:13]
	v_add_f64 v[12:13], v[58:59], v[38:39]
	v_add_f64 v[22:23], v[12:13], v[42:43]
	;; [unrolled: 1-line block ×3, first 2 shown]
	v_fmac_f64_e32 v[58:59], -0.5, v[12:13]
	v_add_f64 v[12:13], v[36:37], -v[40:41]
	v_fmac_f64_e32 v[78:79], v[152:153], v[74:75]
	v_fma_f64 v[26:27], s[2:3], v[12:13], v[58:59]
	v_fmac_f64_e32 v[58:59], s[0:1], v[12:13]
	v_add_f64 v[12:13], v[60:61], v[44:45]
	v_add_f64 v[70:71], v[12:13], v[78:79]
	;; [unrolled: 1-line block ×3, first 2 shown]
	v_fmac_f64_e32 v[60:61], -0.5, v[12:13]
	v_add_f64 v[12:13], v[46:47], -v[76:77]
	v_fma_f64 v[74:75], s[0:1], v[12:13], v[60:61]
	v_fmac_f64_e32 v[60:61], s[2:3], v[12:13]
	v_add_f64 v[12:13], v[62:63], v[46:47]
	v_add_f64 v[72:73], v[12:13], v[76:77]
	;; [unrolled: 1-line block ×3, first 2 shown]
	v_fmac_f64_e32 v[62:63], -0.5, v[12:13]
	v_add_f64 v[12:13], v[44:45], -v[78:79]
	v_add_f64 v[0:1], v[0:1], v[28:29]
	v_add_f64 v[8:9], v[8:9], v[34:35]
	v_fma_f64 v[76:77], s[2:3], v[12:13], v[62:63]
	v_fmac_f64_e32 v[62:63], s[0:1], v[12:13]
	s_barrier
	ds_write_b128 v239, v[0:3]
	ds_write_b128 v239, v[4:7] offset:1664
	ds_write_b128 v239, v[48:51] offset:3328
	ds_write_b128 v248, v[8:11]
	ds_write_b128 v248, v[16:19] offset:1664
	ds_write_b128 v248, v[52:55] offset:3328
	;; [unrolled: 3-line block ×3, first 2 shown]
	ds_write_b128 v249, v[70:73] offset:9984
	ds_write_b128 v249, v[74:77] offset:11648
	;; [unrolled: 1-line block ×3, first 2 shown]
	s_waitcnt lgkmcnt(0)
	s_barrier
	ds_read_b128 v[48:51], v239
	ds_read_b128 v[52:55], v239 offset:1248
	ds_read_b128 v[0:3], v239 offset:4992
	;; [unrolled: 1-line block ×11, first 2 shown]
	s_waitcnt lgkmcnt(9)
	v_mul_f64 v[12:13], v[162:163], v[2:3]
	v_fmac_f64_e32 v[12:13], v[160:161], v[0:1]
	v_mul_f64 v[0:1], v[162:163], v[0:1]
	v_fma_f64 v[14:15], v[160:161], v[2:3], -v[0:1]
	s_waitcnt lgkmcnt(7)
	v_mul_f64 v[28:29], v[166:167], v[10:11]
	v_mul_f64 v[0:1], v[166:167], v[8:9]
	v_fmac_f64_e32 v[28:29], v[164:165], v[8:9]
	v_fma_f64 v[8:9], v[164:165], v[10:11], -v[0:1]
	v_mul_f64 v[0:1], v[170:171], v[4:5]
	v_fma_f64 v[32:33], v[168:169], v[6:7], -v[0:1]
	s_waitcnt lgkmcnt(6)
	v_mul_f64 v[0:1], v[174:175], v[16:17]
	v_mul_f64 v[34:35], v[174:175], v[18:19]
	v_fma_f64 v[18:19], v[172:173], v[18:19], -v[0:1]
	s_waitcnt lgkmcnt(3)
	v_mul_f64 v[0:1], v[178:179], v[24:25]
	v_fma_f64 v[38:39], v[176:177], v[26:27], -v[0:1]
	s_waitcnt lgkmcnt(1)
	v_mul_f64 v[0:1], v[182:183], v[70:71]
	v_fma_f64 v[42:43], v[180:181], v[72:73], -v[0:1]
	v_mul_f64 v[0:1], v[186:187], v[60:61]
	v_fma_f64 v[46:47], v[184:185], v[62:63], -v[0:1]
	s_waitcnt lgkmcnt(0)
	v_mul_f64 v[0:1], v[190:191], v[74:75]
	v_add_f64 v[2:3], v[12:13], v[28:29]
	v_mul_f64 v[30:31], v[170:171], v[6:7]
	v_mul_f64 v[78:79], v[190:191], v[76:77]
	v_fma_f64 v[76:77], v[188:189], v[76:77], -v[0:1]
	v_add_f64 v[0:1], v[48:49], v[12:13]
	v_fmac_f64_e32 v[48:49], -0.5, v[2:3]
	v_add_f64 v[2:3], v[14:15], -v[8:9]
	v_fmac_f64_e32 v[30:31], v[168:169], v[4:5]
	v_fmac_f64_e32 v[34:35], v[172:173], v[16:17]
	v_fma_f64 v[4:5], s[0:1], v[2:3], v[48:49]
	v_fmac_f64_e32 v[48:49], s[2:3], v[2:3]
	v_add_f64 v[2:3], v[50:51], v[14:15]
	v_add_f64 v[6:7], v[14:15], v[8:9]
	;; [unrolled: 1-line block ×3, first 2 shown]
	v_fmac_f64_e32 v[50:51], -0.5, v[6:7]
	v_add_f64 v[8:9], v[12:13], -v[28:29]
	v_add_f64 v[10:11], v[30:31], v[34:35]
	v_mul_f64 v[36:37], v[178:179], v[26:27]
	v_fma_f64 v[6:7], s[2:3], v[8:9], v[50:51]
	v_fmac_f64_e32 v[50:51], s[0:1], v[8:9]
	v_add_f64 v[8:9], v[52:53], v[30:31]
	v_fmac_f64_e32 v[52:53], -0.5, v[10:11]
	v_add_f64 v[10:11], v[32:33], -v[18:19]
	v_add_f64 v[12:13], v[32:33], v[18:19]
	v_fmac_f64_e32 v[36:37], v[176:177], v[24:25]
	v_mul_f64 v[40:41], v[182:183], v[72:73]
	v_fma_f64 v[16:17], s[0:1], v[10:11], v[52:53]
	v_fmac_f64_e32 v[52:53], s[2:3], v[10:11]
	v_add_f64 v[10:11], v[54:55], v[32:33]
	v_fmac_f64_e32 v[54:55], -0.5, v[12:13]
	v_add_f64 v[12:13], v[30:31], -v[34:35]
	v_fmac_f64_e32 v[40:41], v[180:181], v[70:71]
	v_add_f64 v[10:11], v[10:11], v[18:19]
	v_fma_f64 v[18:19], s[2:3], v[12:13], v[54:55]
	v_fmac_f64_e32 v[54:55], s[0:1], v[12:13]
	v_add_f64 v[12:13], v[56:57], v[36:37]
	v_add_f64 v[24:25], v[12:13], v[40:41]
	;; [unrolled: 1-line block ×3, first 2 shown]
	v_mul_f64 v[44:45], v[186:187], v[62:63]
	v_fmac_f64_e32 v[56:57], -0.5, v[12:13]
	v_add_f64 v[12:13], v[38:39], -v[42:43]
	v_fmac_f64_e32 v[44:45], v[184:185], v[60:61]
	v_fma_f64 v[60:61], s[0:1], v[12:13], v[56:57]
	v_fmac_f64_e32 v[56:57], s[2:3], v[12:13]
	v_add_f64 v[12:13], v[58:59], v[38:39]
	v_add_f64 v[26:27], v[12:13], v[42:43]
	;; [unrolled: 1-line block ×3, first 2 shown]
	v_fmac_f64_e32 v[58:59], -0.5, v[12:13]
	v_add_f64 v[12:13], v[36:37], -v[40:41]
	v_fmac_f64_e32 v[78:79], v[188:189], v[74:75]
	v_fma_f64 v[62:63], s[2:3], v[12:13], v[58:59]
	v_fmac_f64_e32 v[58:59], s[0:1], v[12:13]
	v_add_f64 v[12:13], v[20:21], v[44:45]
	v_add_f64 v[70:71], v[12:13], v[78:79]
	;; [unrolled: 1-line block ×3, first 2 shown]
	v_fmac_f64_e32 v[20:21], -0.5, v[12:13]
	v_add_f64 v[12:13], v[46:47], -v[76:77]
	v_fma_f64 v[74:75], s[0:1], v[12:13], v[20:21]
	v_fmac_f64_e32 v[20:21], s[2:3], v[12:13]
	v_add_f64 v[12:13], v[22:23], v[46:47]
	v_add_f64 v[72:73], v[12:13], v[76:77]
	;; [unrolled: 1-line block ×4, first 2 shown]
	v_fmac_f64_e32 v[22:23], -0.5, v[12:13]
	v_add_f64 v[12:13], v[44:45], -v[78:79]
	v_add_f64 v[8:9], v[8:9], v[34:35]
	v_fma_f64 v[76:77], s[2:3], v[12:13], v[22:23]
	v_fmac_f64_e32 v[22:23], s[0:1], v[12:13]
	ds_write_b128 v239, v[0:3]
	ds_write_b128 v239, v[4:7] offset:4992
	ds_write_b128 v99, v[48:51] offset:9984
	;; [unrolled: 1-line block ×11, first 2 shown]
	s_waitcnt lgkmcnt(0)
	s_barrier
	ds_read_b128 v[0:3], v239
	v_mov_b32_e32 v68, v67
	v_accvgpr_read_b32 v13, a7
	v_mad_u64_u32 v[4:5], s[0:1], s7, v238, v[68:69]
	v_accvgpr_read_b32 v12, a6
	v_mov_b32_e32 v67, v4
	ds_read_b128 v[4:7], v239 offset:1248
	v_accvgpr_read_b32 v11, a5
	v_accvgpr_read_b32 v10, a4
	s_waitcnt lgkmcnt(1)
	v_mul_f64 v[8:9], v[12:13], v[2:3]
	v_fmac_f64_e32 v[8:9], v[10:11], v[0:1]
	s_mov_b32 s0, 0x11811812
	v_mul_f64 v[0:1], v[12:13], v[0:1]
	s_mov_b32 s1, 0x3f518118
	v_fma_f64 v[0:1], v[10:11], v[2:3], -v[0:1]
	v_mad_u64_u32 v[12:13], s[2:3], s4, v236, 0
	v_mul_f64 v[10:11], v[0:1], s[0:1]
	v_mov_b32_e32 v0, v13
	v_mad_u64_u32 v[0:1], s[2:3], s5, v236, v[0:1]
	v_mov_b32_e32 v13, v0
	ds_read_b128 v[0:3], v239 offset:7488
	v_lshl_add_u64 v[14:15], v[66:67], 4, v[64:65]
	v_accvgpr_read_b32 v21, a3
	v_mul_f64 v[8:9], v[8:9], s[0:1]
	v_lshl_add_u64 v[16:17], v[12:13], 4, v[14:15]
	v_accvgpr_read_b32 v20, a2
	global_store_dwordx4 v[16:17], v[8:11], off
	ds_read_b128 v[8:11], v239 offset:8736
	v_accvgpr_read_b32 v19, a1
	v_accvgpr_read_b32 v18, a0
	s_waitcnt lgkmcnt(1)
	v_mul_f64 v[12:13], v[20:21], v[2:3]
	v_fmac_f64_e32 v[12:13], v[18:19], v[0:1]
	v_mul_f64 v[0:1], v[20:21], v[0:1]
	v_fma_f64 v[0:1], v[18:19], v[2:3], -v[0:1]
	v_mov_b32_e32 v18, 0x1d40
	v_mad_u64_u32 v[16:17], s[2:3], s4, v18, v[16:17]
	s_mul_i32 s2, s5, 0x1d40
	v_mul_f64 v[12:13], v[12:13], s[0:1]
	v_mul_f64 v[14:15], v[0:1], s[0:1]
	v_add_u32_e32 v17, s2, v17
	global_store_dwordx4 v[16:17], v[12:15], off
	v_mov_b32_e32 v19, 0xffffe7a0
	s_mul_i32 s3, s5, 0xffffe7a0
	v_accvgpr_read_b32 v12, a32
	v_accvgpr_read_b32 v14, a34
	;; [unrolled: 1-line block ×4, first 2 shown]
	v_mul_f64 v[0:1], v[14:15], v[6:7]
	v_mul_f64 v[2:3], v[14:15], v[4:5]
	v_fmac_f64_e32 v[0:1], v[12:13], v[4:5]
	v_fma_f64 v[2:3], v[12:13], v[6:7], -v[2:3]
	v_mad_u64_u32 v[12:13], s[6:7], s4, v19, v[16:17]
	s_sub_i32 s3, s3, s4
	v_accvgpr_read_b32 v4, a44
	v_mul_f64 v[0:1], v[0:1], s[0:1]
	v_mul_f64 v[2:3], v[2:3], s[0:1]
	v_add_u32_e32 v13, s3, v13
	v_accvgpr_read_b32 v6, a46
	v_accvgpr_read_b32 v7, a47
	global_store_dwordx4 v[12:13], v[0:3], off
	v_accvgpr_read_b32 v5, a45
	v_mad_u64_u32 v[12:13], s[6:7], s4, v18, v[12:13]
	s_waitcnt lgkmcnt(0)
	v_mul_f64 v[0:1], v[6:7], v[10:11]
	v_mul_f64 v[2:3], v[6:7], v[8:9]
	v_fmac_f64_e32 v[0:1], v[4:5], v[8:9]
	v_fma_f64 v[2:3], v[4:5], v[10:11], -v[2:3]
	ds_read_b128 v[4:7], v239 offset:2496
	v_accvgpr_read_b32 v14, a20
	v_mul_f64 v[0:1], v[0:1], s[0:1]
	v_mul_f64 v[2:3], v[2:3], s[0:1]
	v_add_u32_e32 v13, s2, v13
	v_accvgpr_read_b32 v16, a22
	v_accvgpr_read_b32 v17, a23
	global_store_dwordx4 v[12:13], v[0:3], off
	ds_read_b128 v[0:3], v239 offset:3744
	v_accvgpr_read_b32 v15, a21
	s_waitcnt lgkmcnt(1)
	v_mul_f64 v[8:9], v[16:17], v[6:7]
	v_fmac_f64_e32 v[8:9], v[14:15], v[4:5]
	v_mul_f64 v[4:5], v[16:17], v[4:5]
	v_fma_f64 v[4:5], v[14:15], v[6:7], -v[4:5]
	v_mul_f64 v[10:11], v[4:5], s[0:1]
	ds_read_b128 v[4:7], v239 offset:9984
	v_mad_u64_u32 v[16:17], s[6:7], s4, v19, v[12:13]
	v_accvgpr_read_b32 v23, a19
	v_mul_f64 v[8:9], v[8:9], s[0:1]
	v_add_u32_e32 v17, s3, v17
	v_accvgpr_read_b32 v22, a18
	global_store_dwordx4 v[16:17], v[8:11], off
	ds_read_b128 v[8:11], v239 offset:11232
	v_accvgpr_read_b32 v21, a17
	v_accvgpr_read_b32 v20, a16
	s_waitcnt lgkmcnt(1)
	v_mul_f64 v[12:13], v[22:23], v[6:7]
	v_fmac_f64_e32 v[12:13], v[20:21], v[4:5]
	v_mul_f64 v[4:5], v[22:23], v[4:5]
	v_fma_f64 v[4:5], v[20:21], v[6:7], -v[4:5]
	v_mad_u64_u32 v[16:17], s[6:7], s4, v18, v[16:17]
	v_mul_f64 v[12:13], v[12:13], s[0:1]
	v_mul_f64 v[14:15], v[4:5], s[0:1]
	v_add_u32_e32 v17, s2, v17
	global_store_dwordx4 v[16:17], v[12:15], off
	v_accvgpr_read_b32 v23, a15
	v_accvgpr_read_b32 v22, a14
	v_accvgpr_read_b32 v12, a28
	v_accvgpr_read_b32 v14, a30
	v_accvgpr_read_b32 v15, a31
	v_accvgpr_read_b32 v13, a29
	v_mul_f64 v[4:5], v[14:15], v[2:3]
	v_fmac_f64_e32 v[4:5], v[12:13], v[0:1]
	v_mul_f64 v[0:1], v[14:15], v[0:1]
	v_fma_f64 v[0:1], v[12:13], v[2:3], -v[0:1]
	v_mad_u64_u32 v[12:13], s[6:7], s4, v19, v[16:17]
	v_mul_f64 v[4:5], v[4:5], s[0:1]
	v_mul_f64 v[6:7], v[0:1], s[0:1]
	v_add_u32_e32 v13, s3, v13
	global_store_dwordx4 v[12:13], v[4:7], off
	v_mad_u64_u32 v[12:13], s[6:7], s4, v18, v[12:13]
	s_nop 0
	v_accvgpr_read_b32 v4, a36
	v_accvgpr_read_b32 v6, a38
	v_accvgpr_read_b32 v7, a39
	v_accvgpr_read_b32 v5, a37
	s_waitcnt lgkmcnt(0)
	v_mul_f64 v[0:1], v[6:7], v[10:11]
	v_mul_f64 v[2:3], v[6:7], v[8:9]
	v_fmac_f64_e32 v[0:1], v[4:5], v[8:9]
	v_fma_f64 v[2:3], v[4:5], v[10:11], -v[2:3]
	ds_read_b128 v[4:7], v239 offset:4992
	v_accvgpr_read_b32 v17, a11
	v_mul_f64 v[0:1], v[0:1], s[0:1]
	v_mul_f64 v[2:3], v[2:3], s[0:1]
	v_add_u32_e32 v13, s2, v13
	v_accvgpr_read_b32 v16, a10
	global_store_dwordx4 v[12:13], v[0:3], off
	ds_read_b128 v[0:3], v239 offset:6240
	v_accvgpr_read_b32 v15, a9
	v_accvgpr_read_b32 v14, a8
	s_waitcnt lgkmcnt(1)
	v_mul_f64 v[8:9], v[16:17], v[6:7]
	v_fmac_f64_e32 v[8:9], v[14:15], v[4:5]
	v_mul_f64 v[4:5], v[16:17], v[4:5]
	v_fma_f64 v[4:5], v[14:15], v[6:7], -v[4:5]
	v_mul_f64 v[10:11], v[4:5], s[0:1]
	ds_read_b128 v[4:7], v239 offset:12480
	v_mad_u64_u32 v[16:17], s[6:7], s4, v19, v[12:13]
	v_mul_f64 v[8:9], v[8:9], s[0:1]
	v_add_u32_e32 v17, s3, v17
	global_store_dwordx4 v[16:17], v[8:11], off
	ds_read_b128 v[8:11], v239 offset:13728
	v_accvgpr_read_b32 v21, a13
	v_accvgpr_read_b32 v20, a12
	s_waitcnt lgkmcnt(1)
	v_mul_f64 v[12:13], v[22:23], v[6:7]
	v_fmac_f64_e32 v[12:13], v[20:21], v[4:5]
	v_mul_f64 v[4:5], v[22:23], v[4:5]
	v_fma_f64 v[4:5], v[20:21], v[6:7], -v[4:5]
	v_mad_u64_u32 v[16:17], s[6:7], s4, v18, v[16:17]
	v_mul_f64 v[12:13], v[12:13], s[0:1]
	v_mul_f64 v[14:15], v[4:5], s[0:1]
	v_add_u32_e32 v17, s2, v17
	global_store_dwordx4 v[16:17], v[12:15], off
	s_nop 1
	v_accvgpr_read_b32 v12, a24
	v_accvgpr_read_b32 v14, a26
	;; [unrolled: 1-line block ×4, first 2 shown]
	v_mul_f64 v[4:5], v[14:15], v[2:3]
	v_fmac_f64_e32 v[4:5], v[12:13], v[0:1]
	v_mul_f64 v[0:1], v[14:15], v[0:1]
	v_fma_f64 v[0:1], v[12:13], v[2:3], -v[0:1]
	v_mad_u64_u32 v[12:13], s[6:7], s4, v19, v[16:17]
	v_mul_f64 v[4:5], v[4:5], s[0:1]
	v_mul_f64 v[6:7], v[0:1], s[0:1]
	v_add_u32_e32 v13, s3, v13
	global_store_dwordx4 v[12:13], v[4:7], off
	s_nop 1
	v_accvgpr_read_b32 v4, a40
	v_accvgpr_read_b32 v6, a42
	v_accvgpr_read_b32 v7, a43
	v_accvgpr_read_b32 v5, a41
	s_waitcnt lgkmcnt(0)
	v_mul_f64 v[0:1], v[6:7], v[10:11]
	v_mul_f64 v[2:3], v[6:7], v[8:9]
	v_fmac_f64_e32 v[0:1], v[4:5], v[8:9]
	v_fma_f64 v[2:3], v[4:5], v[10:11], -v[2:3]
	v_mul_f64 v[0:1], v[0:1], s[0:1]
	v_mul_f64 v[2:3], v[2:3], s[0:1]
	v_mad_u64_u32 v[4:5], s[0:1], s4, v18, v[12:13]
	v_add_u32_e32 v5, s2, v5
	global_store_dwordx4 v[4:5], v[0:3], off
.LBB0_10:
	s_endpgm
	.section	.rodata,"a",@progbits
	.p2align	6, 0x0
	.amdhsa_kernel bluestein_single_fwd_len936_dim1_dp_op_CI_CI
		.amdhsa_group_segment_fixed_size 44928
		.amdhsa_private_segment_fixed_size 0
		.amdhsa_kernarg_size 104
		.amdhsa_user_sgpr_count 2
		.amdhsa_user_sgpr_dispatch_ptr 0
		.amdhsa_user_sgpr_queue_ptr 0
		.amdhsa_user_sgpr_kernarg_segment_ptr 1
		.amdhsa_user_sgpr_dispatch_id 0
		.amdhsa_user_sgpr_kernarg_preload_length 0
		.amdhsa_user_sgpr_kernarg_preload_offset 0
		.amdhsa_user_sgpr_private_segment_size 0
		.amdhsa_uses_dynamic_stack 0
		.amdhsa_enable_private_segment 0
		.amdhsa_system_sgpr_workgroup_id_x 1
		.amdhsa_system_sgpr_workgroup_id_y 0
		.amdhsa_system_sgpr_workgroup_id_z 0
		.amdhsa_system_sgpr_workgroup_info 0
		.amdhsa_system_vgpr_workitem_id 0
		.amdhsa_next_free_vgpr 346
		.amdhsa_next_free_sgpr 50
		.amdhsa_accum_offset 256
		.amdhsa_reserve_vcc 1
		.amdhsa_float_round_mode_32 0
		.amdhsa_float_round_mode_16_64 0
		.amdhsa_float_denorm_mode_32 3
		.amdhsa_float_denorm_mode_16_64 3
		.amdhsa_dx10_clamp 1
		.amdhsa_ieee_mode 1
		.amdhsa_fp16_overflow 0
		.amdhsa_tg_split 0
		.amdhsa_exception_fp_ieee_invalid_op 0
		.amdhsa_exception_fp_denorm_src 0
		.amdhsa_exception_fp_ieee_div_zero 0
		.amdhsa_exception_fp_ieee_overflow 0
		.amdhsa_exception_fp_ieee_underflow 0
		.amdhsa_exception_fp_ieee_inexact 0
		.amdhsa_exception_int_div_zero 0
	.end_amdhsa_kernel
	.text
.Lfunc_end0:
	.size	bluestein_single_fwd_len936_dim1_dp_op_CI_CI, .Lfunc_end0-bluestein_single_fwd_len936_dim1_dp_op_CI_CI
                                        ; -- End function
	.section	.AMDGPU.csdata,"",@progbits
; Kernel info:
; codeLenInByte = 20748
; NumSgprs: 56
; NumVgprs: 256
; NumAgprs: 90
; TotalNumVgprs: 346
; ScratchSize: 0
; MemoryBound: 0
; FloatMode: 240
; IeeeMode: 1
; LDSByteSize: 44928 bytes/workgroup (compile time only)
; SGPRBlocks: 6
; VGPRBlocks: 43
; NumSGPRsForWavesPerEU: 56
; NumVGPRsForWavesPerEU: 346
; AccumOffset: 256
; Occupancy: 1
; WaveLimiterHint : 1
; COMPUTE_PGM_RSRC2:SCRATCH_EN: 0
; COMPUTE_PGM_RSRC2:USER_SGPR: 2
; COMPUTE_PGM_RSRC2:TRAP_HANDLER: 0
; COMPUTE_PGM_RSRC2:TGID_X_EN: 1
; COMPUTE_PGM_RSRC2:TGID_Y_EN: 0
; COMPUTE_PGM_RSRC2:TGID_Z_EN: 0
; COMPUTE_PGM_RSRC2:TIDIG_COMP_CNT: 0
; COMPUTE_PGM_RSRC3_GFX90A:ACCUM_OFFSET: 63
; COMPUTE_PGM_RSRC3_GFX90A:TG_SPLIT: 0
	.text
	.p2alignl 6, 3212836864
	.fill 256, 4, 3212836864
	.type	__hip_cuid_f58280caf6d9b289,@object ; @__hip_cuid_f58280caf6d9b289
	.section	.bss,"aw",@nobits
	.globl	__hip_cuid_f58280caf6d9b289
__hip_cuid_f58280caf6d9b289:
	.byte	0                               ; 0x0
	.size	__hip_cuid_f58280caf6d9b289, 1

	.ident	"AMD clang version 19.0.0git (https://github.com/RadeonOpenCompute/llvm-project roc-6.4.0 25133 c7fe45cf4b819c5991fe208aaa96edf142730f1d)"
	.section	".note.GNU-stack","",@progbits
	.addrsig
	.addrsig_sym __hip_cuid_f58280caf6d9b289
	.amdgpu_metadata
---
amdhsa.kernels:
  - .agpr_count:     90
    .args:
      - .actual_access:  read_only
        .address_space:  global
        .offset:         0
        .size:           8
        .value_kind:     global_buffer
      - .actual_access:  read_only
        .address_space:  global
        .offset:         8
        .size:           8
        .value_kind:     global_buffer
      - .actual_access:  read_only
        .address_space:  global
        .offset:         16
        .size:           8
        .value_kind:     global_buffer
      - .actual_access:  read_only
        .address_space:  global
        .offset:         24
        .size:           8
        .value_kind:     global_buffer
      - .actual_access:  read_only
        .address_space:  global
        .offset:         32
        .size:           8
        .value_kind:     global_buffer
      - .offset:         40
        .size:           8
        .value_kind:     by_value
      - .address_space:  global
        .offset:         48
        .size:           8
        .value_kind:     global_buffer
      - .address_space:  global
        .offset:         56
        .size:           8
        .value_kind:     global_buffer
      - .address_space:  global
        .offset:         64
        .size:           8
        .value_kind:     global_buffer
      - .address_space:  global
        .offset:         72
        .size:           8
        .value_kind:     global_buffer
      - .offset:         80
        .size:           4
        .value_kind:     by_value
      - .address_space:  global
        .offset:         88
        .size:           8
        .value_kind:     global_buffer
      - .address_space:  global
        .offset:         96
        .size:           8
        .value_kind:     global_buffer
    .group_segment_fixed_size: 44928
    .kernarg_segment_align: 8
    .kernarg_segment_size: 104
    .language:       OpenCL C
    .language_version:
      - 2
      - 0
    .max_flat_workgroup_size: 234
    .name:           bluestein_single_fwd_len936_dim1_dp_op_CI_CI
    .private_segment_fixed_size: 0
    .sgpr_count:     56
    .sgpr_spill_count: 0
    .symbol:         bluestein_single_fwd_len936_dim1_dp_op_CI_CI.kd
    .uniform_work_group_size: 1
    .uses_dynamic_stack: false
    .vgpr_count:     346
    .vgpr_spill_count: 0
    .wavefront_size: 64
amdhsa.target:   amdgcn-amd-amdhsa--gfx950
amdhsa.version:
  - 1
  - 2
...

	.end_amdgpu_metadata
